;; amdgpu-corpus repo=ROCm/rocFFT kind=compiled arch=gfx1201 opt=O3
	.text
	.amdgcn_target "amdgcn-amd-amdhsa--gfx1201"
	.amdhsa_code_object_version 6
	.protected	bluestein_single_back_len726_dim1_dp_op_CI_CI ; -- Begin function bluestein_single_back_len726_dim1_dp_op_CI_CI
	.globl	bluestein_single_back_len726_dim1_dp_op_CI_CI
	.p2align	8
	.type	bluestein_single_back_len726_dim1_dp_op_CI_CI,@function
bluestein_single_back_len726_dim1_dp_op_CI_CI: ; @bluestein_single_back_len726_dim1_dp_op_CI_CI
; %bb.0:
	s_load_b128 s[16:19], s[0:1], 0x28
	v_mul_u32_u24_e32 v1, 0x3e1, v0
	v_mov_b32_e32 v4, 0
	s_mov_b32 s2, exec_lo
	s_delay_alu instid0(VALU_DEP_2) | instskip(NEXT) | instid1(VALU_DEP_1)
	v_lshrrev_b32_e32 v44, 16, v1
	v_lshl_add_u32 v3, ttmp9, 1, v44
	s_wait_kmcnt 0x0
	s_delay_alu instid0(VALU_DEP_1)
	v_cmpx_gt_u64_e64 s[16:17], v[3:4]
	s_cbranch_execz .LBB0_10
; %bb.1:
	s_clause 0x1
	s_load_b128 s[4:7], s[0:1], 0x18
	s_load_b128 s[8:11], s[0:1], 0x0
	v_mul_lo_u16 v1, 0x42, v44
	v_mov_b32_e32 v4, v3
	s_mov_b32 s24, 0xf8bb580b
	s_mov_b32 s25, 0xbfe14ced
	;; [unrolled: 1-line block ×3, first 2 shown]
	v_sub_nc_u16 v68, v0, v1
	scratch_store_b64 off, v[4:5], off offset:128 ; 8-byte Folded Spill
	s_mov_b32 s20, 0x8eee2c13
	s_mov_b32 s22, 0x43842ef
	;; [unrolled: 1-line block ×3, first 2 shown]
	v_and_b32_e32 v255, 0xffff, v68
	s_mov_b32 s26, 0xbb3a28a1
	s_mov_b32 s27, 0xbfe82f19
	;; [unrolled: 1-line block ×7, first 2 shown]
	s_wait_kmcnt 0x0
	s_load_b128 s[12:15], s[4:5], 0x0
	s_mov_b32 s37, 0x3fd207e7
	s_mov_b32 s36, s28
	;; [unrolled: 1-line block ×5, first 2 shown]
	s_load_b64 s[0:1], s[0:1], 0x38
	s_wait_kmcnt 0x0
	v_mad_co_u64_u32 v[8:9], null, s12, v255, 0
	v_mad_co_u64_u32 v[0:1], null, s14, v3, 0
	s_mul_u64 s[2:3], s[12:13], 0x420
	s_delay_alu instid0(VALU_DEP_2) | instskip(NEXT) | instid1(VALU_DEP_1)
	v_mov_b32_e32 v2, v9
	v_mad_co_u64_u32 v[3:4], null, s15, v3, v[1:2]
	s_mov_b32 s14, 0x640f44db
	s_mov_b32 s15, 0xbfc2375f
	s_delay_alu instid0(VALU_DEP_1) | instskip(SKIP_3) | instid1(VALU_DEP_1)
	v_mad_co_u64_u32 v[4:5], null, s13, v255, v[2:3]
	v_dual_mov_b32 v1, v3 :: v_dual_lshlrev_b32 v166, 4, v255
	s_mov_b32 s12, 0xd9c712b6
	s_mov_b32 s13, 0x3fda9628
	v_lshlrev_b64_e32 v[10:11], 4, v[0:1]
	s_delay_alu instid0(VALU_DEP_3)
	v_mov_b32_e32 v9, v4
	s_clause 0x1
	global_load_b128 v[2:5], v166, s[8:9]
	global_load_b128 v[12:15], v166, s[8:9] offset:1056
	v_add_co_u32 v0, vcc_lo, s18, v10
	v_lshlrev_b64_e32 v[16:17], 4, v[8:9]
	v_add_co_ci_u32_e32 v1, vcc_lo, s19, v11, vcc_lo
	s_clause 0x5
	global_load_b128 v[6:9], v166, s[8:9] offset:2112
	global_load_b128 v[18:21], v166, s[8:9] offset:3168
	;; [unrolled: 1-line block ×6, first 2 shown]
	v_add_co_u32 v32, vcc_lo, v0, v16
	s_wait_alu 0xfffd
	v_add_co_ci_u32_e32 v33, vcc_lo, v1, v17, vcc_lo
	v_and_b32_e32 v0, 1, v44
	s_delay_alu instid0(VALU_DEP_3) | instskip(SKIP_1) | instid1(VALU_DEP_3)
	v_add_co_u32 v34, vcc_lo, v32, s2
	s_wait_alu 0xfffd
	v_add_co_ci_u32_e32 v35, vcc_lo, s3, v33, vcc_lo
	global_load_b128 v[45:48], v[32:33], off
	v_add_co_u32 v36, vcc_lo, v34, s2
	s_wait_alu 0xfffd
	v_add_co_ci_u32_e32 v37, vcc_lo, s3, v35, vcc_lo
	s_clause 0x1
	global_load_b128 v[49:52], v[34:35], off
	global_load_b128 v[53:56], v[36:37], off
	v_add_co_u32 v38, vcc_lo, v36, s2
	s_wait_alu 0xfffd
	v_add_co_ci_u32_e32 v39, vcc_lo, s3, v37, vcc_lo
	s_mov_b32 s18, 0x9bcd5057
	s_delay_alu instid0(VALU_DEP_2) | instskip(SKIP_1) | instid1(VALU_DEP_2)
	v_add_co_u32 v32, vcc_lo, v38, s2
	s_wait_alu 0xfffd
	v_add_co_ci_u32_e32 v33, vcc_lo, s3, v39, vcc_lo
	s_clause 0x1
	global_load_b128 v[57:60], v[38:39], off
	global_load_b128 v[61:64], v[32:33], off
	v_add_co_u32 v34, vcc_lo, v32, s2
	s_wait_alu 0xfffd
	v_add_co_ci_u32_e32 v35, vcc_lo, s3, v33, vcc_lo
	s_mov_b32 s19, 0xbfeeb42a
	s_delay_alu instid0(VALU_DEP_2) | instskip(SKIP_1) | instid1(VALU_DEP_2)
	v_add_co_u32 v32, vcc_lo, v34, s2
	s_wait_alu 0xfffd
	v_add_co_ci_u32_e32 v33, vcc_lo, s3, v35, vcc_lo
	global_load_b128 v[69:72], v[34:35], off
	v_add_co_u32 v34, vcc_lo, v32, s2
	s_wait_alu 0xfffd
	v_add_co_ci_u32_e32 v35, vcc_lo, s3, v33, vcc_lo
	global_load_b128 v[73:76], v[32:33], off
	;; [unrolled: 4-line block ×4, first 2 shown]
	v_add_co_u32 v65, vcc_lo, v40, s2
	s_wait_alu 0xfffd
	v_add_co_ci_u32_e32 v66, vcc_lo, s3, v41, vcc_lo
	s_clause 0x1
	global_load_b128 v[34:37], v166, s[8:9] offset:8448
	global_load_b128 v[30:33], v166, s[8:9] offset:9504
	global_load_b128 v[85:88], v[40:41], off
	global_load_b128 v[38:41], v166, s[8:9] offset:10560
	global_load_b128 v[89:92], v[65:66], off
	v_cmp_eq_u32_e32 vcc_lo, 1, v0
	s_load_b128 s[4:7], s[6:7], 0x0
	s_mov_b32 s2, 0x8764f0ba
	s_mov_b32 s3, 0x3feaeb8c
	v_mul_lo_u16 v0, v68, 11
	v_cndmask_b32_e64 v175, 0, 0x2d60, vcc_lo
	v_cmp_gt_u16_e32 vcc_lo, 55, v68
	s_delay_alu instid0(VALU_DEP_3) | instskip(NEXT) | instid1(VALU_DEP_3)
	v_and_b32_e32 v0, 0xffff, v0
	v_add_nc_u32_e32 v174, v175, v166
	s_wait_loadcnt 0x15
	scratch_store_b128 off, v[2:5], off offset:16 ; 16-byte Folded Spill
	s_wait_loadcnt 0x14
	scratch_store_b128 off, v[12:15], off offset:32 ; 16-byte Folded Spill
	;; [unrolled: 2-line block ×8, first 2 shown]
	s_wait_loadcnt 0xd
	v_mul_f64_e32 v[65:66], v[47:48], v[4:5]
	v_mul_f64_e32 v[93:94], v[45:46], v[4:5]
	s_wait_loadcnt 0xc
	v_mul_f64_e32 v[95:96], v[51:52], v[14:15]
	v_mul_f64_e32 v[97:98], v[49:50], v[14:15]
	;; [unrolled: 3-line block ×7, first 2 shown]
	v_fma_f64 v[45:46], v[45:46], v[2:3], v[65:66]
	s_wait_loadcnt 0x6
	v_mul_f64_e32 v[119:120], v[79:80], v[141:142]
	v_mul_f64_e32 v[121:122], v[77:78], v[141:142]
	v_fma_f64 v[47:48], v[47:48], v[2:3], -v[93:94]
	v_fma_f64 v[49:50], v[49:50], v[12:13], v[95:96]
	s_wait_loadcnt 0x4
	v_mul_f64_e32 v[123:124], v[83:84], v[36:37]
	v_mul_f64_e32 v[125:126], v[81:82], v[36:37]
	s_wait_loadcnt 0x2
	v_mul_f64_e32 v[127:128], v[87:88], v[32:33]
	v_mul_f64_e32 v[129:130], v[85:86], v[32:33]
	;; [unrolled: 3-line block ×3, first 2 shown]
	v_fma_f64 v[51:52], v[51:52], v[12:13], -v[97:98]
	v_fma_f64 v[53:54], v[53:54], v[6:7], v[99:100]
	v_fma_f64 v[55:56], v[55:56], v[6:7], -v[101:102]
	s_clause 0x1
	scratch_store_b128 off, v[34:37], off offset:168
	scratch_store_b128 off, v[30:33], off offset:152
	v_fma_f64 v[57:58], v[57:58], v[18:19], v[103:104]
	v_fma_f64 v[59:60], v[59:60], v[18:19], -v[105:106]
	v_fma_f64 v[61:62], v[61:62], v[22:23], v[107:108]
	v_fma_f64 v[63:64], v[63:64], v[22:23], -v[109:110]
	scratch_store_b128 off, v[38:41], off offset:184 ; 16-byte Folded Spill
	v_fma_f64 v[69:70], v[69:70], v[26:27], v[111:112]
	v_fma_f64 v[71:72], v[71:72], v[26:27], -v[113:114]
	v_fma_f64 v[73:74], v[73:74], v[135:136], v[115:116]
	v_fma_f64 v[75:76], v[75:76], v[135:136], -v[117:118]
	;; [unrolled: 2-line block ×6, first 2 shown]
	ds_store_b128 v174, v[45:48]
	ds_store_b128 v174, v[49:52] offset:1056
	ds_store_b128 v174, v[53:56] offset:2112
	;; [unrolled: 1-line block ×10, first 2 shown]
	global_wb scope:SCOPE_SE
	s_wait_storecnt_dscnt 0x0
	s_wait_kmcnt 0x0
	s_barrier_signal -1
	s_barrier_wait -1
	global_inv scope:SCOPE_SE
	ds_load_b128 v[48:51], v174
	ds_load_b128 v[69:72], v174 offset:1056
	ds_load_b128 v[44:47], v174 offset:10560
	;; [unrolled: 1-line block ×10, first 2 shown]
	global_wb scope:SCOPE_SE
	s_wait_dscnt 0x0
	s_barrier_signal -1
	s_barrier_wait -1
	global_inv scope:SCOPE_SE
	v_add_f64_e32 v[89:90], v[48:49], v[69:70]
	v_add_f64_e32 v[91:92], v[50:51], v[71:72]
	v_add_f64_e64 v[93:94], v[71:72], -v[46:47]
	v_add_f64_e64 v[95:96], v[69:70], -v[44:45]
	;; [unrolled: 1-line block ×4, first 2 shown]
	v_add_f64_e32 v[105:106], v[77:78], v[56:57]
	v_add_f64_e32 v[107:108], v[79:80], v[58:59]
	v_add_f64_e64 v[97:98], v[73:74], -v[52:53]
	v_add_f64_e64 v[99:100], v[75:76], -v[54:55]
	v_add_f64_e32 v[69:70], v[69:70], v[44:45]
	v_add_f64_e32 v[71:72], v[71:72], v[46:47]
	v_add_f64_e64 v[121:122], v[85:86], -v[64:65]
	v_add_f64_e32 v[109:110], v[81:82], v[60:61]
	v_add_f64_e64 v[111:112], v[83:84], -v[62:63]
	v_add_f64_e64 v[113:114], v[81:82], -v[60:61]
	v_add_f64_e32 v[115:116], v[83:84], v[62:63]
	v_add_f64_e32 v[117:118], v[85:86], v[64:65]
	;; [unrolled: 1-line block ×3, first 2 shown]
	v_add_f64_e64 v[123:124], v[87:88], -v[66:67]
	v_add_f64_e32 v[89:90], v[89:90], v[73:74]
	v_add_f64_e32 v[91:92], v[91:92], v[75:76]
	v_mul_f64_e32 v[125:126], s[24:25], v[93:94]
	v_mul_f64_e32 v[127:128], s[24:25], v[95:96]
	;; [unrolled: 1-line block ×12, first 2 shown]
	s_mov_b32 s21, 0x3fed1bb4
	v_add_f64_e32 v[73:74], v[73:74], v[52:53]
	v_add_f64_e32 v[75:76], v[75:76], v[54:55]
	v_mul_f64_e32 v[145:146], s[26:27], v[99:100]
	v_mul_f64_e32 v[147:148], s[26:27], v[97:98]
	;; [unrolled: 1-line block ×16, first 2 shown]
	s_wait_alu 0xfffe
	v_mul_f64_e32 v[101:102], s[20:21], v[101:102]
	v_mul_f64_e32 v[103:104], s[20:21], v[103:104]
	;; [unrolled: 1-line block ×5, first 2 shown]
	v_add_f64_e32 v[77:78], v[89:90], v[77:78]
	v_add_f64_e32 v[79:80], v[91:92], v[79:80]
	v_mul_f64_e32 v[89:90], s[36:37], v[99:100]
	v_mul_f64_e32 v[91:92], s[36:37], v[97:98]
	v_fma_f64 v[208:209], v[69:70], s[12:13], -v[129:130]
	v_fma_f64 v[210:211], v[71:72], s[12:13], v[131:132]
	v_fma_f64 v[212:213], v[69:70], s[14:15], -v[133:134]
	v_fma_f64 v[214:215], v[71:72], s[14:15], v[135:136]
	v_fma_f64 v[129:130], v[69:70], s[12:13], v[129:130]
	;; [unrolled: 1-line block ×3, first 2 shown]
	v_fma_f64 v[216:217], v[69:70], s[16:17], -v[137:138]
	v_fma_f64 v[218:219], v[71:72], s[16:17], v[139:140]
	v_mul_f64_e32 v[99:100], s[30:31], v[99:100]
	v_mul_f64_e32 v[97:98], s[30:31], v[97:98]
	v_fma_f64 v[137:138], v[69:70], s[16:17], v[137:138]
	v_fma_f64 v[220:221], v[69:70], s[18:19], -v[93:94]
	v_fma_f64 v[222:223], v[71:72], s[18:19], v[95:96]
	v_fma_f64 v[131:132], v[71:72], s[12:13], -v[131:132]
	v_fma_f64 v[135:136], v[71:72], s[14:15], -v[135:136]
	;; [unrolled: 1-line block ×4, first 2 shown]
	v_fma_f64 v[226:227], v[75:76], s[16:17], v[147:148]
	v_fma_f64 v[145:146], v[73:74], s[16:17], v[145:146]
	v_fma_f64 v[232:233], v[73:74], s[14:15], -v[149:150]
	v_fma_f64 v[234:235], v[75:76], s[14:15], v[151:152]
	v_fma_f64 v[149:150], v[73:74], s[14:15], v[149:150]
	v_fma_f64 v[147:148], v[75:76], s[16:17], -v[147:148]
	v_mul_f64_e32 v[182:183], s[34:35], v[113:114]
	v_mul_f64_e32 v[184:185], s[24:25], v[111:112]
	;; [unrolled: 1-line block ×7, first 2 shown]
	v_fma_f64 v[236:237], v[105:106], s[18:19], -v[157:158]
	v_fma_f64 v[238:239], v[107:108], s[18:19], v[159:160]
	v_fma_f64 v[157:158], v[105:106], s[18:19], v[157:158]
	v_fma_f64 v[159:160], v[107:108], s[18:19], -v[159:160]
	v_add_f64_e32 v[77:78], v[77:78], v[81:82]
	v_add_f64_e32 v[79:80], v[79:80], v[83:84]
	v_mul_f64_e32 v[81:82], s[20:21], v[121:122]
	v_fma_f64 v[83:84], v[69:70], s[2:3], -v[125:126]
	v_fma_f64 v[121:122], v[71:72], s[2:3], v[127:128]
	v_fma_f64 v[125:126], v[69:70], s[2:3], v[125:126]
	v_fma_f64 v[127:128], v[71:72], s[2:3], -v[127:128]
	v_fma_f64 v[69:70], v[69:70], s[18:19], v[93:94]
	v_fma_f64 v[71:72], v[71:72], s[18:19], -v[95:96]
	v_fma_f64 v[93:94], v[73:74], s[12:13], -v[141:142]
	v_fma_f64 v[95:96], v[75:76], s[12:13], v[143:144]
	v_fma_f64 v[141:142], v[73:74], s[12:13], v[141:142]
	v_fma_f64 v[143:144], v[75:76], s[12:13], -v[143:144]
	v_add_f64_e32 v[208:209], v[48:49], v[208:209]
	v_add_f64_e32 v[210:211], v[50:51], v[210:211]
	v_fma_f64 v[228:229], v[73:74], s[18:19], -v[89:90]
	v_fma_f64 v[230:231], v[75:76], s[18:19], v[91:92]
	v_add_f64_e32 v[212:213], v[48:49], v[212:213]
	v_add_f64_e32 v[214:215], v[50:51], v[214:215]
	v_fma_f64 v[89:90], v[73:74], s[18:19], v[89:90]
	v_add_f64_e32 v[129:130], v[48:49], v[129:130]
	v_add_f64_e32 v[133:134], v[48:49], v[133:134]
	;; [unrolled: 1-line block ×7, first 2 shown]
	v_fma_f64 v[91:92], v[75:76], s[18:19], -v[91:92]
	v_add_f64_e32 v[135:136], v[50:51], v[135:136]
	v_add_f64_e32 v[131:132], v[50:51], v[131:132]
	v_fma_f64 v[240:241], v[105:106], s[2:3], -v[161:162]
	v_fma_f64 v[242:243], v[107:108], s[2:3], v[163:164]
	v_fma_f64 v[161:162], v[105:106], s[2:3], v[161:162]
	v_fma_f64 v[163:164], v[107:108], s[2:3], -v[163:164]
	v_fma_f64 v[248:249], v[105:106], s[12:13], -v[101:102]
	v_fma_f64 v[101:102], v[105:106], s[12:13], v[101:102]
	v_mul_f64_e32 v[196:197], s[30:31], v[123:124]
	v_fma_f64 v[244:245], v[109:110], s[14:15], -v[180:181]
	v_add_f64_e32 v[77:78], v[77:78], v[85:86]
	v_add_f64_e32 v[79:80], v[79:80], v[87:88]
	v_fma_f64 v[85:86], v[75:76], s[14:15], -v[151:152]
	v_add_f64_e32 v[83:84], v[48:49], v[83:84]
	v_fma_f64 v[87:88], v[73:74], s[2:3], -v[99:100]
	v_add_f64_e32 v[125:126], v[48:49], v[125:126]
	v_add_f64_e32 v[127:128], v[50:51], v[127:128]
	v_fma_f64 v[151:152], v[75:76], s[2:3], v[97:98]
	v_fma_f64 v[73:74], v[73:74], s[2:3], v[99:100]
	v_fma_f64 v[75:76], v[75:76], s[2:3], -v[97:98]
	v_add_f64_e32 v[48:49], v[48:49], v[69:70]
	v_add_f64_e32 v[69:70], v[50:51], v[71:72]
	;; [unrolled: 1-line block ×4, first 2 shown]
	v_fma_f64 v[97:98], v[105:106], s[14:15], -v[153:154]
	v_fma_f64 v[99:100], v[107:108], s[14:15], v[155:156]
	v_fma_f64 v[153:154], v[105:106], s[14:15], v[153:154]
	v_fma_f64 v[155:156], v[107:108], s[14:15], -v[155:156]
	v_fma_f64 v[121:122], v[105:106], s[16:17], v[167:168]
	v_fma_f64 v[139:140], v[107:108], s[16:17], -v[169:170]
	v_add_f64_e32 v[129:130], v[145:146], v[129:130]
	v_add_f64_e32 v[89:90], v[89:90], v[133:134]
	v_add_f64_e32 v[133:134], v[232:233], v[216:217]
	v_add_f64_e32 v[145:146], v[234:235], v[218:219]
	v_add_f64_e32 v[137:138], v[149:150], v[137:138]
	v_fma_f64 v[246:247], v[115:116], s[14:15], v[182:183]
	v_fma_f64 v[180:181], v[109:110], s[14:15], v[180:181]
	v_fma_f64 v[182:183], v[115:116], s[14:15], -v[182:183]
	v_mul_f64_e32 v[200:201], s[26:27], v[123:124]
	v_mul_f64_e32 v[192:193], s[28:29], v[123:124]
	;; [unrolled: 1-line block ×4, first 2 shown]
	v_add_f64_e32 v[64:65], v[77:78], v[64:65]
	v_add_f64_e32 v[66:67], v[79:80], v[66:67]
	v_fma_f64 v[77:78], v[105:106], s[16:17], -v[167:168]
	v_fma_f64 v[79:80], v[107:108], s[16:17], v[169:170]
	v_fma_f64 v[105:106], v[107:108], s[12:13], v[103:104]
	v_fma_f64 v[103:104], v[107:108], s[12:13], -v[103:104]
	v_add_f64_e32 v[83:84], v[93:94], v[83:84]
	v_add_f64_e32 v[93:94], v[141:142], v[125:126]
	;; [unrolled: 1-line block ×15, first 2 shown]
	v_fma_f64 v[167:168], v[109:110], s[16:17], -v[176:177]
	v_fma_f64 v[169:170], v[115:116], s[16:17], v[178:179]
	v_fma_f64 v[176:177], v[109:110], s[16:17], v[176:177]
	v_fma_f64 v[178:179], v[115:116], s[16:17], -v[178:179]
	v_fma_f64 v[85:86], v[109:110], s[2:3], v[184:185]
	v_fma_f64 v[91:92], v[115:116], s[2:3], -v[186:187]
	v_fma_f64 v[95:96], v[109:110], s[18:19], -v[188:189]
	v_fma_f64 v[131:132], v[115:116], s[18:19], v[190:191]
	v_fma_f64 v[135:136], v[109:110], s[18:19], v[188:189]
	v_fma_f64 v[147:148], v[115:116], s[18:19], -v[190:191]
	v_fma_f64 v[190:191], v[109:110], s[12:13], -v[111:112]
	v_add_f64_e32 v[89:90], v[101:102], v[89:90]
	v_add_f64_e32 v[101:102], v[240:241], v[133:134]
	v_add_f64_e32 v[133:134], v[161:162], v[137:138]
	v_fma_f64 v[151:152], v[117:118], s[18:19], -v[192:193]
	v_fma_f64 v[188:189], v[119:120], s[18:19], -v[194:195]
	v_fma_f64 v[137:138], v[117:118], s[16:17], v[200:201]
	v_add_f64_e32 v[60:61], v[64:65], v[60:61]
	v_add_f64_e32 v[62:63], v[66:67], v[62:63]
	v_fma_f64 v[64:65], v[109:110], s[2:3], -v[184:185]
	v_fma_f64 v[66:67], v[115:116], s[2:3], v[186:187]
	v_fma_f64 v[109:110], v[109:110], s[12:13], v[111:112]
	;; [unrolled: 1-line block ×3, first 2 shown]
	v_fma_f64 v[113:114], v[115:116], s[12:13], -v[113:114]
	v_add_f64_e32 v[83:84], v[97:98], v[83:84]
	v_add_f64_e32 v[97:98], v[155:156], v[107:108]
	;; [unrolled: 1-line block ×17, first 2 shown]
	v_fma_f64 v[99:100], v[117:118], s[16:17], -v[200:201]
	v_fma_f64 v[103:104], v[119:120], s[16:17], v[202:203]
	v_fma_f64 v[153:154], v[117:118], s[12:13], -v[123:124]
	v_fma_f64 v[155:156], v[119:120], s[12:13], v[81:82]
	;; [unrolled: 2-line block ×3, first 2 shown]
	v_fma_f64 v[184:185], v[119:120], s[18:19], v[194:195]
	v_fma_f64 v[87:88], v[117:118], s[2:3], v[196:197]
	v_fma_f64 v[121:122], v[119:120], s[2:3], -v[198:199]
	v_add_f64_e32 v[101:102], v[95:96], v[101:102]
	v_fma_f64 v[139:140], v[119:120], s[16:17], -v[202:203]
	v_fma_f64 v[145:146], v[117:118], s[14:15], v[204:205]
	v_fma_f64 v[149:150], v[119:120], s[14:15], -v[206:207]
	v_fma_f64 v[81:82], v[119:120], s[12:13], -v[81:82]
	v_add_f64_e32 v[56:57], v[60:61], v[56:57]
	v_add_f64_e32 v[58:59], v[62:63], v[58:59]
	v_fma_f64 v[60:61], v[117:118], s[2:3], -v[196:197]
	v_fma_f64 v[62:63], v[119:120], s[2:3], v[198:199]
	v_add_f64_e32 v[85:86], v[85:86], v[89:90]
	v_fma_f64 v[186:187], v[117:118], s[18:19], v[192:193]
	v_fma_f64 v[117:118], v[117:118], s[12:13], v[123:124]
	v_add_f64_e32 v[83:84], v[167:168], v[83:84]
	v_add_f64_e32 v[123:124], v[135:136], v[133:134]
	v_add_f64_e32 v[107:108], v[244:245], v[107:108]
	v_add_f64_e32 v[115:116], v[246:247], v[115:116]
	v_add_f64_e32 v[64:65], v[64:65], v[127:128]
	v_add_f64_e32 v[66:67], v[66:67], v[105:106]
	v_add_f64_e32 v[119:120], v[180:181], v[125:126]
	v_add_f64_e32 v[105:106], v[131:132], v[129:130]
	v_add_f64_e32 v[77:78], v[190:191], v[77:78]
	v_add_f64_e32 v[79:80], v[111:112], v[79:80]
	v_add_f64_e32 v[109:110], v[109:110], v[48:49]
	v_add_f64_e32 v[69:70], v[113:114], v[69:70]
	v_add_f64_e32 v[71:72], v[147:148], v[71:72]
	v_add_f64_e32 v[73:74], v[91:92], v[73:74]
	v_add_f64_e32 v[75:76], v[182:183], v[75:76]
	v_add_f64_e32 v[93:94], v[176:177], v[93:94]
	v_add_f64_e32 v[97:98], v[178:179], v[97:98]
	v_add_f64_e32 v[50:51], v[169:170], v[50:51]
	v_lshl_add_u32 v167, v0, 4, v175
	v_add_co_u32 v132, s2, s8, v166
	s_wait_alu 0xf1ff
	v_add_co_ci_u32_e64 v133, null, s9, 0, s2
	v_add_f64_e32 v[125:126], v[56:57], v[52:53]
	v_add_f64_e32 v[127:128], v[58:59], v[54:55]
	;; [unrolled: 1-line block ×24, first 2 shown]
                                        ; implicit-def: $vgpr128_vgpr129
	ds_store_b128 v167, v[52:55] offset:32
	ds_store_b128 v167, v[56:59] offset:48
	;; [unrolled: 1-line block ×9, first 2 shown]
	ds_store_b128 v167, v[44:47]
	ds_store_b128 v167, v[48:51] offset:16
	global_wb scope:SCOPE_SE
	s_wait_dscnt 0x0
	s_barrier_signal -1
	s_barrier_wait -1
	global_inv scope:SCOPE_SE
	ds_load_b128 v[96:99], v174
	ds_load_b128 v[116:119], v174 offset:1936
	ds_load_b128 v[104:107], v174 offset:3872
	ds_load_b128 v[120:123], v174 offset:5808
	ds_load_b128 v[108:111], v174 offset:7744
	ds_load_b128 v[124:127], v174 offset:9680
	s_and_saveexec_b32 s2, vcc_lo
	s_cbranch_execz .LBB0_3
; %bb.2:
	ds_load_b128 v[84:87], v174 offset:1056
	ds_load_b128 v[100:103], v174 offset:2992
	;; [unrolled: 1-line block ×6, first 2 shown]
.LBB0_3:
	s_wait_alu 0xfffe
	s_or_b32 exec_lo, exec_lo, s2
	v_and_b32_e32 v0, 0xff, v255
	v_add_nc_u16 v1, v255, 0x42
	s_mov_b32 s2, 0xe8584caa
	s_mov_b32 s3, 0x3febb67a
	s_mov_b32 s13, 0xbfebb67a
	v_mul_lo_u16 v0, 0x75, v0
	v_and_b32_e32 v2, 0xff, v1
	s_wait_alu 0xfffe
	s_mov_b32 s12, s2
	s_delay_alu instid0(VALU_DEP_2) | instskip(NEXT) | instid1(VALU_DEP_2)
	v_lshrrev_b16 v0, 8, v0
	v_mul_lo_u16 v2, 0x75, v2
	s_delay_alu instid0(VALU_DEP_2) | instskip(NEXT) | instid1(VALU_DEP_2)
	v_sub_nc_u16 v3, v255, v0
	v_lshrrev_b16 v2, 8, v2
	s_delay_alu instid0(VALU_DEP_2) | instskip(NEXT) | instid1(VALU_DEP_2)
	v_lshrrev_b16 v3, 1, v3
	v_sub_nc_u16 v4, v1, v2
	s_delay_alu instid0(VALU_DEP_2) | instskip(NEXT) | instid1(VALU_DEP_2)
	v_and_b32_e32 v3, 0x7f, v3
	v_lshrrev_b16 v4, 1, v4
	s_delay_alu instid0(VALU_DEP_2) | instskip(NEXT) | instid1(VALU_DEP_2)
	v_add_nc_u16 v0, v3, v0
	v_and_b32_e32 v3, 0x7f, v4
	s_delay_alu instid0(VALU_DEP_2) | instskip(NEXT) | instid1(VALU_DEP_2)
	v_lshrrev_b16 v0, 3, v0
	v_add_nc_u16 v2, v3, v2
	s_delay_alu instid0(VALU_DEP_2) | instskip(NEXT) | instid1(VALU_DEP_2)
	v_mul_lo_u16 v3, v0, 11
	v_lshrrev_b16 v2, 3, v2
	v_and_b32_e32 v0, 0xffff, v0
	s_delay_alu instid0(VALU_DEP_3) | instskip(NEXT) | instid1(VALU_DEP_3)
	v_sub_nc_u16 v3, v255, v3
	v_mul_lo_u16 v4, v2, 11
	s_delay_alu instid0(VALU_DEP_3) | instskip(NEXT) | instid1(VALU_DEP_3)
	v_mul_u32_u24_e32 v0, 0x42, v0
	v_and_b32_e32 v3, 0xff, v3
	s_delay_alu instid0(VALU_DEP_3) | instskip(NEXT) | instid1(VALU_DEP_2)
	v_sub_nc_u16 v1, v1, v4
	v_mad_co_u64_u32 v[52:53], null, 0x50, v3, s[10:11]
	s_delay_alu instid0(VALU_DEP_2) | instskip(SKIP_1) | instid1(VALU_DEP_2)
	v_and_b32_e32 v1, 0xff, v1
	v_add_nc_u32_e32 v0, v0, v3
	v_mad_co_u64_u32 v[54:55], null, 0x50, v1, s[10:11]
	scratch_store_b32 off, v1, off offset:200 ; 4-byte Folded Spill
	s_clause 0x9
	global_load_b128 v[64:67], v[52:53], off offset:32
	global_load_b128 v[68:71], v[52:53], off offset:64
	;; [unrolled: 1-line block ×4, first 2 shown]
	global_load_b128 v[72:75], v[52:53], off
	global_load_b128 v[8:11], v[54:55], off
	global_load_b128 v[80:83], v[52:53], off offset:16
	global_load_b128 v[76:79], v[52:53], off offset:48
	;; [unrolled: 1-line block ×4, first 2 shown]
	s_wait_loadcnt_dscnt 0x902
	v_mul_f64_e32 v[134:135], v[122:123], v[66:67]
	v_mul_f64_e32 v[136:137], v[120:121], v[66:67]
	s_wait_loadcnt_dscnt 0x800
	v_mul_f64_e32 v[138:139], v[124:125], v[70:71]
	v_mul_f64_e32 v[140:141], v[126:127], v[70:71]
	s_wait_loadcnt 0x7
	v_mul_f64_e32 v[142:143], v[114:115], v[6:7]
	v_mul_f64_e32 v[144:145], v[112:113], v[6:7]
	s_wait_loadcnt 0x6
	;; [unrolled: 3-line block ×5, first 2 shown]
	v_mul_f64_e32 v[158:159], v[94:95], v[14:15]
	v_mul_f64_e32 v[160:161], v[92:93], v[14:15]
	s_clause 0x2
	scratch_store_b128 off, v[4:7], off offset:208
	scratch_store_b128 off, v[12:15], off offset:240
	;; [unrolled: 1-line block ×3, first 2 shown]
	v_fma_f64 v[134:135], v[120:121], v[64:65], -v[134:135]
	v_fma_f64 v[136:137], v[122:123], v[64:65], v[136:137]
	v_fma_f64 v[138:139], v[126:127], v[68:69], v[138:139]
	v_fma_f64 v[140:141], v[124:125], v[68:69], -v[140:141]
	v_mul_f64_e32 v[124:125], v[102:103], v[10:11]
	v_mul_f64_e32 v[126:127], v[100:101], v[10:11]
	v_fma_f64 v[120:121], v[112:113], v[4:5], -v[142:143]
	v_fma_f64 v[122:123], v[114:115], v[4:5], v[144:145]
	v_fma_f64 v[112:113], v[128:129], v[60:61], -v[146:147]
	v_fma_f64 v[114:115], v[130:131], v[60:61], v[148:149]
	v_mul_f64_e32 v[128:129], v[106:107], v[82:83]
	v_mul_f64_e32 v[130:131], v[104:105], v[82:83]
	;; [unrolled: 1-line block ×4, first 2 shown]
	v_fma_f64 v[146:147], v[116:117], v[72:73], -v[150:151]
	v_fma_f64 v[148:149], v[118:119], v[72:73], v[152:153]
	v_add_f64_e32 v[150:151], v[136:137], v[138:139]
	v_add_f64_e32 v[152:153], v[134:135], v[140:141]
	v_fma_f64 v[116:117], v[100:101], v[8:9], -v[124:125]
	v_fma_f64 v[118:119], v[102:103], v[8:9], v[126:127]
	v_add_f64_e64 v[162:163], v[136:137], -v[138:139]
	v_add_f64_e64 v[164:165], v[134:135], -v[140:141]
	v_add_f64_e32 v[100:101], v[120:121], v[112:113]
	v_add_f64_e32 v[102:103], v[122:123], v[114:115]
	v_fma_f64 v[126:127], v[104:105], v[80:81], -v[128:129]
	v_fma_f64 v[130:131], v[106:107], v[80:81], v[130:131]
	v_fma_f64 v[142:143], v[108:109], v[76:77], -v[142:143]
	v_fma_f64 v[144:145], v[110:111], v[76:77], v[144:145]
	;; [unrolled: 2-line block ×4, first 2 shown]
	v_add_f64_e64 v[124:125], v[122:123], -v[114:115]
	v_add_f64_e64 v[128:129], v[120:121], -v[112:113]
	v_add_f64_e32 v[134:135], v[146:147], v[134:135]
	v_add_f64_e32 v[136:137], v[148:149], v[136:137]
	v_fma_f64 v[150:151], v[150:151], -0.5, v[148:149]
	v_fma_f64 v[152:153], v[152:153], -0.5, v[146:147]
	;; [unrolled: 1-line block ×4, first 2 shown]
	v_add_f64_e32 v[168:169], v[98:99], v[130:131]
	v_add_f64_e32 v[92:93], v[126:127], v[142:143]
	;; [unrolled: 1-line block ×3, first 2 shown]
	v_add_f64_e64 v[148:149], v[126:127], -v[142:143]
	v_add_f64_e32 v[154:155], v[104:105], v[88:89]
	v_add_f64_e32 v[156:157], v[106:107], v[90:91]
	s_wait_alu 0xfffe
	v_fma_f64 v[100:101], v[164:165], s[12:13], v[150:151]
	v_fma_f64 v[102:103], v[162:163], s[12:13], v[152:153]
	;; [unrolled: 1-line block ×4, first 2 shown]
	v_add_f64_e32 v[162:163], v[96:97], v[126:127]
	v_add_f64_e64 v[164:165], v[130:131], -v[144:145]
	v_fma_f64 v[158:159], v[124:125], s[12:13], v[108:109]
	v_fma_f64 v[160:161], v[128:129], s[2:3], v[110:111]
	v_add_f64_e64 v[126:127], v[106:107], -v[90:91]
	v_add_f64_e64 v[130:131], v[104:105], -v[88:89]
	v_fma_f64 v[146:147], v[92:93], -0.5, v[96:97]
	v_fma_f64 v[94:95], v[94:95], -0.5, v[98:99]
	v_add_f64_e32 v[144:145], v[168:169], v[144:145]
	v_add_f64_e32 v[168:169], v[136:137], v[138:139]
	v_fma_f64 v[92:93], v[154:155], -0.5, v[84:85]
	v_fma_f64 v[96:97], v[156:157], -0.5, v[86:87]
	v_mul_f64_e32 v[98:99], s[2:3], v[100:101]
	v_mul_f64_e32 v[170:171], -0.5, v[102:103]
	v_mul_f64_e32 v[179:180], -0.5, v[150:151]
	v_mul_f64_e32 v[177:178], s[12:13], v[152:153]
	v_add_f64_e32 v[142:143], v[162:163], v[142:143]
	v_add_f64_e32 v[162:163], v[134:135], v[140:141]
	v_mul_f64_e32 v[154:155], -0.5, v[158:159]
	v_mul_f64_e32 v[156:157], -0.5, v[160:161]
	v_fma_f64 v[181:182], v[164:165], s[2:3], v[146:147]
	v_fma_f64 v[164:165], v[164:165], s[12:13], v[146:147]
	v_fma_f64 v[183:184], v[148:149], s[12:13], v[94:95]
	v_fma_f64 v[185:186], v[148:149], s[2:3], v[94:95]
	v_fma_f64 v[94:95], v[126:127], s[12:13], v[92:93]
	v_fma_f64 v[134:135], v[130:131], s[2:3], v[96:97]
	v_add_f64_e32 v[140:141], v[144:145], v[168:169]
	v_add_f64_e64 v[144:145], v[144:145], -v[168:169]
	v_fma_f64 v[187:188], v[152:153], 0.5, v[98:99]
	v_fma_f64 v[170:171], v[150:151], s[2:3], v[170:171]
	v_fma_f64 v[102:103], v[102:103], s[12:13], v[179:180]
	v_fma_f64 v[100:101], v[100:101], 0.5, v[177:178]
	v_lshl_add_u32 v178, v0, 4, v175
	v_add_f64_e32 v[138:139], v[142:143], v[162:163]
	v_fma_f64 v[98:99], v[160:161], s[2:3], v[154:155]
	v_fma_f64 v[136:137], v[158:159], s[12:13], v[156:157]
	v_add_f64_e64 v[142:143], v[142:143], -v[162:163]
	v_and_b32_e32 v0, 0xffff, v2
	v_add_f64_e32 v[146:147], v[181:182], v[187:188]
	v_add_f64_e32 v[150:151], v[164:165], v[170:171]
	;; [unrolled: 1-line block ×4, first 2 shown]
	v_add_f64_e64 v[154:155], v[181:182], -v[187:188]
	v_add_f64_e64 v[156:157], v[183:184], -v[100:101]
	;; [unrolled: 1-line block ×6, first 2 shown]
	s_clause 0x1
	scratch_store_b128 off, v[8:11], off offset:224
	scratch_store_b128 off, v[4:7], off
	global_wb scope:SCOPE_SE
	s_wait_storecnt 0x0
	s_barrier_signal -1
	s_barrier_wait -1
	global_inv scope:SCOPE_SE
	ds_store_b128 v178, v[138:141]
	ds_store_b128 v178, v[146:149] offset:176
	scratch_store_b32 off, v0, off offset:204 ; 4-byte Folded Spill
	ds_store_b128 v178, v[150:153] offset:352
	ds_store_b128 v178, v[142:145] offset:528
	;; [unrolled: 1-line block ×4, first 2 shown]
	s_and_saveexec_b32 s12, vcc_lo
	s_cbranch_execz .LBB0_5
; %bb.4:
	s_clause 0x1
	scratch_load_b32 v0, off, off offset:204
	scratch_load_b32 v1, off, off offset:200
	v_mul_f64_e32 v[124:125], s[2:3], v[124:125]
	v_mul_f64_e32 v[128:129], s[2:3], v[128:129]
	v_add_f64_e32 v[86:87], v[86:87], v[106:107]
	v_add_f64_e32 v[106:107], v[118:119], v[122:123]
	;; [unrolled: 1-line block ×4, first 2 shown]
	v_mul_f64_e32 v[116:117], s[2:3], v[130:131]
	v_mul_f64_e32 v[120:121], s[2:3], v[126:127]
	v_add_f64_e32 v[108:109], v[124:125], v[108:109]
	v_add_f64_e64 v[110:111], v[110:111], -v[128:129]
	v_add_f64_e32 v[124:125], v[86:87], v[90:91]
	v_add_f64_e32 v[106:107], v[106:107], v[114:115]
	;; [unrolled: 1-line block ×4, first 2 shown]
	v_add_f64_e64 v[96:97], v[96:97], -v[116:117]
	v_add_f64_e32 v[112:113], v[120:121], v[92:93]
	v_add_f64_e32 v[86:87], v[134:135], v[136:137]
	;; [unrolled: 1-line block ×3, first 2 shown]
	v_mul_f64_e32 v[118:119], s[2:3], v[108:109]
	v_mul_f64_e32 v[122:123], s[2:3], v[110:111]
	v_add_f64_e64 v[90:91], v[124:125], -v[106:107]
	v_add_f64_e32 v[94:95], v[124:125], v[106:107]
	v_add_f64_e64 v[88:89], v[114:115], -v[104:105]
	v_add_f64_e32 v[92:93], v[114:115], v[104:105]
	v_fma_f64 v[110:111], v[110:111], 0.5, -v[118:119]
	v_fma_f64 v[108:109], v[108:109], 0.5, v[122:123]
	s_delay_alu instid0(VALU_DEP_2) | instskip(NEXT) | instid1(VALU_DEP_2)
	v_add_f64_e32 v[106:107], v[96:97], v[110:111]
	v_add_f64_e32 v[104:105], v[112:113], v[108:109]
	v_add_f64_e64 v[98:99], v[96:97], -v[110:111]
	v_add_f64_e64 v[96:97], v[112:113], -v[108:109]
	s_wait_loadcnt 0x1
	v_mul_u32_u24_e32 v0, 0x42, v0
	s_wait_loadcnt 0x0
	s_delay_alu instid0(VALU_DEP_1) | instskip(NEXT) | instid1(VALU_DEP_1)
	v_add_nc_u32_e32 v0, v0, v1
	v_lshl_add_u32 v0, v0, 4, v175
	ds_store_b128 v0, v[84:87] offset:352
	ds_store_b128 v0, v[88:91] offset:528
	ds_store_b128 v0, v[92:95]
	ds_store_b128 v0, v[104:107] offset:176
	ds_store_b128 v0, v[96:99] offset:704
	scratch_load_b128 v[1:4], off, off      ; 16-byte Folded Reload
	s_wait_loadcnt 0x0
	ds_store_b128 v0, v[1:4] offset:880
.LBB0_5:
	s_wait_alu 0xfffe
	s_or_b32 exec_lo, exec_lo, s12
	v_mad_co_u64_u32 v[120:121], null, 0xa0, v255, s[10:11]
	global_wb scope:SCOPE_SE
	s_wait_storecnt_dscnt 0x0
	s_barrier_signal -1
	s_barrier_wait -1
	global_inv scope:SCOPE_SE
	s_mov_b32 s26, 0xf8bb580b
	s_mov_b32 s14, 0x8eee2c13
	s_clause 0x3
	global_load_b128 v[88:91], v[120:121], off offset:880
	global_load_b128 v[84:87], v[120:121], off offset:1024
	global_load_b128 v[92:95], v[120:121], off offset:896
	global_load_b128 v[96:99], v[120:121], off offset:1008
	ds_load_b128 v[104:107], v174 offset:1056
	ds_load_b128 v[108:111], v174 offset:10560
	ds_load_b128 v[168:171], v174
	s_mov_b32 s16, 0x43842ef
	s_mov_b32 s10, 0xbb3a28a1
	;; [unrolled: 1-line block ×19, first 2 shown]
	s_wait_alu 0xfffe
	s_mov_b32 s28, s2
	s_mov_b32 s31, 0x3fefac9e
	;; [unrolled: 1-line block ×7, first 2 shown]
	s_add_nc_u64 s[8:9], s[8:9], 0x2d60
	s_wait_loadcnt_dscnt 0x302
	v_mul_f64_e32 v[112:113], v[106:107], v[90:91]
	v_mul_f64_e32 v[114:115], v[104:105], v[90:91]
	s_wait_loadcnt_dscnt 0x201
	v_mul_f64_e32 v[118:119], v[110:111], v[86:87]
	v_mul_f64_e32 v[116:117], v[108:109], v[86:87]
	s_delay_alu instid0(VALU_DEP_4) | instskip(NEXT) | instid1(VALU_DEP_4)
	v_fma_f64 v[183:184], v[104:105], v[88:89], -v[112:113]
	v_fma_f64 v[185:186], v[106:107], v[88:89], v[114:115]
	ds_load_b128 v[104:107], v174 offset:2112
	ds_load_b128 v[112:115], v174 offset:3168
	v_fma_f64 v[130:131], v[108:109], v[84:85], -v[118:119]
	v_fma_f64 v[128:129], v[110:111], v[84:85], v[116:117]
	s_wait_loadcnt_dscnt 0x101
	v_mul_f64_e32 v[108:109], v[106:107], v[94:95]
	v_add_f64_e32 v[225:226], v[168:169], v[183:184]
	v_add_f64_e32 v[227:228], v[170:171], v[185:186]
	v_add_f64_e32 v[193:194], v[183:184], v[130:131]
	v_add_f64_e32 v[213:214], v[185:186], v[128:129]
	v_fma_f64 v[138:139], v[104:105], v[92:93], -v[108:109]
	v_mul_f64_e32 v[104:105], v[104:105], v[94:95]
	s_delay_alu instid0(VALU_DEP_1) | instskip(SKIP_4) | instid1(VALU_DEP_1)
	v_fma_f64 v[140:141], v[106:107], v[92:93], v[104:105]
	ds_load_b128 v[104:107], v174 offset:9504
	ds_load_b128 v[122:125], v174 offset:8448
	s_wait_loadcnt_dscnt 0x1
	v_mul_f64_e32 v[108:109], v[104:105], v[98:99]
	v_fma_f64 v[134:135], v[106:107], v[96:97], v[108:109]
	v_mul_f64_e32 v[106:107], v[106:107], v[98:99]
	s_delay_alu instid0(VALU_DEP_2) | instskip(NEXT) | instid1(VALU_DEP_2)
	v_add_f64_e32 v[233:234], v[140:141], v[134:135]
	v_fma_f64 v[136:137], v[104:105], v[96:97], -v[106:107]
	s_clause 0x1
	global_load_b128 v[108:111], v[120:121], off offset:912
	global_load_b128 v[104:107], v[120:121], off offset:928
	v_add_f64_e64 v[231:232], v[138:139], -v[136:137]
	s_delay_alu instid0(VALU_DEP_1) | instskip(SKIP_4) | instid1(VALU_DEP_3)
	v_mul_f64_e32 v[235:236], s[14:15], v[231:232]
	v_mul_f64_e32 v[16:17], s[10:11], v[231:232]
	s_wait_alu 0xfffe
	v_mul_f64_e32 v[32:33], s[28:29], v[231:232]
	v_mul_f64_e32 v[44:45], s[30:31], v[231:232]
	v_fma_f64 v[18:19], v[233:234], s[18:19], v[16:17]
	s_delay_alu instid0(VALU_DEP_3) | instskip(NEXT) | instid1(VALU_DEP_3)
	v_fma_f64 v[34:35], v[233:234], s[12:13], v[32:33]
	v_fma_f64 v[46:47], v[233:234], s[22:23], v[44:45]
	s_wait_loadcnt 0x1
	v_mul_f64_e32 v[116:117], v[114:115], v[110:111]
	s_delay_alu instid0(VALU_DEP_1) | instskip(SKIP_1) | instid1(VALU_DEP_1)
	v_fma_f64 v[146:147], v[112:113], v[108:109], -v[116:117]
	v_mul_f64_e32 v[112:113], v[112:113], v[110:111]
	v_fma_f64 v[148:149], v[114:115], v[108:109], v[112:113]
	s_clause 0x1
	global_load_b128 v[116:119], v[120:121], off offset:992
	global_load_b128 v[112:115], v[120:121], off offset:976
	s_wait_loadcnt_dscnt 0x100
	v_mul_f64_e32 v[126:127], v[122:123], v[118:119]
	s_delay_alu instid0(VALU_DEP_1) | instskip(SKIP_1) | instid1(VALU_DEP_2)
	v_fma_f64 v[142:143], v[124:125], v[116:117], v[126:127]
	v_mul_f64_e32 v[124:125], v[124:125], v[118:119]
	v_add_f64_e64 v[237:238], v[148:149], -v[142:143]
	s_delay_alu instid0(VALU_DEP_2)
	v_fma_f64 v[144:145], v[122:123], v[116:117], -v[124:125]
	ds_load_b128 v[122:125], v174 offset:4224
	ds_load_b128 v[160:163], v174 offset:5280
	v_add_f64_e32 v[245:246], v[148:149], v[142:143]
	s_wait_dscnt 0x1
	v_mul_f64_e32 v[126:127], v[124:125], v[106:107]
	v_mul_f64_e32 v[241:242], s[16:17], v[237:238]
	v_add_f64_e32 v[239:240], v[146:147], v[144:145]
	v_add_f64_e64 v[243:244], v[146:147], -v[144:145]
	v_mul_f64_e32 v[20:21], s[28:29], v[237:238]
	v_mul_f64_e32 v[36:37], s[36:37], v[237:238]
	v_fma_f64 v[150:151], v[122:123], v[104:105], -v[126:127]
	v_mul_f64_e32 v[122:123], v[122:123], v[106:107]
	v_mul_f64_e32 v[247:248], s[16:17], v[243:244]
	;; [unrolled: 1-line block ×3, first 2 shown]
	v_fma_f64 v[22:23], v[239:240], s[12:13], -v[20:21]
	v_mul_f64_e32 v[40:41], s[36:37], v[243:244]
	v_fma_f64 v[38:39], v[239:240], s[20:21], -v[36:37]
	v_mul_f64_e32 v[48:49], s[26:27], v[243:244]
	v_fma_f64 v[154:155], v[124:125], v[104:105], v[122:123]
	ds_load_b128 v[122:125], v174 offset:7392
	ds_load_b128 v[179:182], v174 offset:6336
	v_fma_f64 v[26:27], v[245:246], s[12:13], v[24:25]
	s_wait_loadcnt_dscnt 0x1
	v_mul_f64_e32 v[126:127], v[124:125], v[114:115]
	v_fma_f64 v[42:43], v[245:246], s[20:21], v[40:41]
	v_fma_f64 v[50:51], v[245:246], s[24:25], v[48:49]
	s_delay_alu instid0(VALU_DEP_3) | instskip(SKIP_1) | instid1(VALU_DEP_2)
	v_fma_f64 v[152:153], v[122:123], v[112:113], -v[126:127]
	v_mul_f64_e32 v[122:123], v[122:123], v[114:115]
	v_add_f64_e32 v[251:252], v[150:151], v[152:153]
	s_delay_alu instid0(VALU_DEP_2)
	v_fma_f64 v[156:157], v[124:125], v[112:113], v[122:123]
	s_clause 0x1
	global_load_b128 v[124:127], v[120:121], off offset:944
	global_load_b128 v[120:123], v[120:121], off offset:960
	v_add_f64_e64 v[176:177], v[150:151], -v[152:153]
	v_add_f64_e64 v[249:250], v[154:155], -v[156:157]
	v_add_f64_e32 v[172:173], v[154:155], v[156:157]
	s_delay_alu instid0(VALU_DEP_3)
	v_mul_f64_e32 v[0:1], s[10:11], v[176:177]
	v_mul_f64_e32 v[28:29], s[30:31], v[176:177]
	;; [unrolled: 1-line block ×6, first 2 shown]
	v_fma_f64 v[2:3], v[172:173], s[18:19], -v[0:1]
	v_fma_f64 v[30:31], v[172:173], s[22:23], v[28:29]
	v_fma_f64 v[102:103], v[172:173], s[24:25], v[100:101]
	;; [unrolled: 1-line block ×4, first 2 shown]
	s_wait_loadcnt 0x1
	v_mul_f64_e32 v[158:159], v[162:163], v[126:127]
	s_wait_loadcnt_dscnt 0x0
	v_mul_f64_e32 v[164:165], v[179:180], v[122:123]
	s_delay_alu instid0(VALU_DEP_2) | instskip(SKIP_1) | instid1(VALU_DEP_3)
	v_fma_f64 v[158:159], v[160:161], v[124:125], -v[158:159]
	v_mul_f64_e32 v[160:161], v[160:161], v[126:127]
	v_fma_f64 v[164:165], v[181:182], v[120:121], v[164:165]
	s_delay_alu instid0(VALU_DEP_2) | instskip(SKIP_1) | instid1(VALU_DEP_2)
	v_fma_f64 v[160:161], v[162:163], v[124:125], v[160:161]
	v_mul_f64_e32 v[162:163], v[181:182], v[122:123]
	v_add_f64_e64 v[4:5], v[160:161], -v[164:165]
	s_delay_alu instid0(VALU_DEP_2) | instskip(SKIP_2) | instid1(VALU_DEP_4)
	v_fma_f64 v[162:163], v[179:180], v[120:121], -v[162:163]
	v_add_f64_e64 v[179:180], v[185:186], -v[128:129]
	v_add_f64_e32 v[12:13], v[160:161], v[164:165]
	v_mul_f64_e32 v[8:9], s[2:3], v[4:5]
	s_delay_alu instid0(VALU_DEP_4) | instskip(NEXT) | instid1(VALU_DEP_4)
	v_add_f64_e32 v[6:7], v[158:159], v[162:163]
	v_mul_f64_e32 v[181:182], s[26:27], v[179:180]
	v_mul_f64_e32 v[187:188], s[14:15], v[179:180]
	;; [unrolled: 1-line block ×5, first 2 shown]
	v_fma_f64 v[10:11], v[6:7], s[12:13], v[8:9]
	v_fma_f64 v[195:196], v[193:194], s[24:25], -v[181:182]
	v_fma_f64 v[181:182], v[193:194], s[24:25], v[181:182]
	v_fma_f64 v[197:198], v[193:194], s[20:21], -v[187:188]
	;; [unrolled: 2-line block ×5, first 2 shown]
	v_fma_f64 v[179:180], v[193:194], s[12:13], v[179:180]
	v_add_f64_e64 v[193:194], v[183:184], -v[130:131]
	v_add_f64_e32 v[181:182], v[168:169], v[181:182]
	v_add_f64_e32 v[185:186], v[168:169], v[197:198]
	s_delay_alu instid0(VALU_DEP_3)
	v_mul_f64_e32 v[205:206], s[26:27], v[193:194]
	v_mul_f64_e32 v[207:208], s[14:15], v[193:194]
	;; [unrolled: 1-line block ×5, first 2 shown]
	v_fma_f64 v[215:216], v[213:214], s[24:25], -v[205:206]
	v_fma_f64 v[217:218], v[213:214], s[20:21], v[207:208]
	v_fma_f64 v[205:206], v[213:214], s[24:25], v[205:206]
	;; [unrolled: 1-line block ×4, first 2 shown]
	v_fma_f64 v[193:194], v[213:214], s[12:13], -v[193:194]
	v_fma_f64 v[207:208], v[213:214], s[20:21], -v[207:208]
	v_fma_f64 v[219:220], v[213:214], s[22:23], v[209:210]
	v_fma_f64 v[209:210], v[213:214], s[22:23], -v[209:210]
	v_fma_f64 v[211:212], v[213:214], s[18:19], -v[211:212]
	v_add_f64_e32 v[213:214], v[168:169], v[195:196]
	v_add_f64_e32 v[183:184], v[170:171], v[215:216]
	;; [unrolled: 1-line block ×7, first 2 shown]
	v_add_f64_e64 v[193:194], v[140:141], -v[134:135]
	v_add_f64_e32 v[215:216], v[170:171], v[205:206]
	v_add_f64_e32 v[205:206], v[168:169], v[189:190]
	;; [unrolled: 1-line block ×12, first 2 shown]
	v_fma_f64 v[170:171], v[233:234], s[20:21], -v[235:236]
	v_fma_f64 v[179:180], v[239:240], s[22:23], v[241:242]
	v_add_f64_e32 v[18:19], v[18:19], v[195:196]
	v_mul_f64_e32 v[195:196], s[34:35], v[231:232]
	v_mul_f64_e32 v[231:232], s[36:37], v[249:250]
	v_add_f64_e32 v[46:47], v[46:47], v[199:200]
	v_mul_f64_e32 v[199:200], s[26:27], v[237:238]
	v_mul_f64_e32 v[229:230], s[14:15], v[193:194]
	v_add_f64_e32 v[34:35], v[34:35], v[197:198]
	v_mul_f64_e32 v[197:198], s[10:11], v[237:238]
	v_add_f64_e32 v[170:171], v[170:171], v[183:184]
	v_add_f64_e32 v[18:19], v[26:27], v[18:19]
	v_mul_f64_e32 v[26:27], s[30:31], v[249:250]
	v_add_f64_e32 v[46:47], v[50:51], v[46:47]
	v_mul_f64_e32 v[50:51], s[2:3], v[249:250]
	v_fma_f64 v[168:169], v[223:224], s[20:21], v[229:230]
	v_add_f64_e32 v[34:35], v[42:43], v[34:35]
	v_mul_f64_e32 v[42:43], s[26:27], v[249:250]
	v_add_f64_e32 v[18:19], v[30:31], v[18:19]
	v_mul_f64_e32 v[30:31], s[34:35], v[4:5]
	;; [unrolled: 2-line block ×3, first 2 shown]
	v_add_f64_e32 v[168:169], v[168:169], v[181:182]
	v_add_f64_e32 v[34:35], v[102:103], v[34:35]
	v_mul_f64_e32 v[102:103], s[10:11], v[4:5]
	v_mul_f64_e32 v[4:5], s[16:17], v[4:5]
	s_delay_alu instid0(VALU_DEP_4) | instskip(SKIP_1) | instid1(VALU_DEP_1)
	v_add_f64_e32 v[168:169], v[179:180], v[168:169]
	v_fma_f64 v[179:180], v[245:246], s[22:23], -v[247:248]
	v_add_f64_e32 v[170:171], v[179:180], v[170:171]
	v_fma_f64 v[179:180], v[251:252], s[18:19], v[253:254]
	s_delay_alu instid0(VALU_DEP_2) | instskip(NEXT) | instid1(VALU_DEP_2)
	v_add_f64_e32 v[2:3], v[2:3], v[170:171]
	v_add_f64_e32 v[168:169], v[179:180], v[168:169]
	s_delay_alu instid0(VALU_DEP_1) | instskip(SKIP_1) | instid1(VALU_DEP_1)
	v_add_f64_e32 v[168:169], v[10:11], v[168:169]
	v_add_f64_e64 v[10:11], v[158:159], -v[162:163]
	v_mul_f64_e32 v[14:15], s[2:3], v[10:11]
	v_mul_f64_e32 v[56:57], s[36:37], v[10:11]
	s_delay_alu instid0(VALU_DEP_2) | instskip(NEXT) | instid1(VALU_DEP_2)
	v_fma_f64 v[170:171], v[12:13], s[12:13], -v[14:15]
	v_fma_f64 v[58:59], v[12:13], s[20:21], v[56:57]
	s_delay_alu instid0(VALU_DEP_2) | instskip(SKIP_1) | instid1(VALU_DEP_1)
	v_add_f64_e32 v[170:171], v[170:171], v[2:3]
	v_mul_f64_e32 v[2:3], s[10:11], v[193:194]
	v_fma_f64 v[179:180], v[223:224], s[18:19], -v[2:3]
	v_fma_f64 v[2:3], v[223:224], s[18:19], v[2:3]
	s_delay_alu instid0(VALU_DEP_2) | instskip(NEXT) | instid1(VALU_DEP_2)
	v_add_f64_e32 v[179:180], v[179:180], v[185:186]
	v_add_f64_e32 v[2:3], v[2:3], v[217:218]
	s_delay_alu instid0(VALU_DEP_2) | instskip(SKIP_1) | instid1(VALU_DEP_1)
	v_add_f64_e32 v[22:23], v[22:23], v[179:180]
	v_fma_f64 v[179:180], v[251:252], s[22:23], -v[26:27]
	v_add_f64_e32 v[22:23], v[179:180], v[22:23]
	v_fma_f64 v[179:180], v[6:7], s[24:25], -v[30:31]
	s_delay_alu instid0(VALU_DEP_1) | instskip(SKIP_1) | instid1(VALU_DEP_1)
	v_add_f64_e32 v[179:180], v[179:180], v[22:23]
	v_mul_f64_e32 v[22:23], s[34:35], v[10:11]
	v_fma_f64 v[181:182], v[12:13], s[24:25], v[22:23]
	s_delay_alu instid0(VALU_DEP_1) | instskip(SKIP_1) | instid1(VALU_DEP_1)
	v_add_f64_e32 v[181:182], v[181:182], v[18:19]
	v_mul_f64_e32 v[18:19], s[28:29], v[193:194]
	v_fma_f64 v[183:184], v[223:224], s[12:13], -v[18:19]
	s_delay_alu instid0(VALU_DEP_1) | instskip(NEXT) | instid1(VALU_DEP_1)
	v_add_f64_e32 v[183:184], v[183:184], v[187:188]
	v_add_f64_e32 v[38:39], v[38:39], v[183:184]
	v_fma_f64 v[183:184], v[251:252], s[24:25], -v[42:43]
	s_delay_alu instid0(VALU_DEP_1) | instskip(SKIP_1) | instid1(VALU_DEP_1)
	v_add_f64_e32 v[38:39], v[183:184], v[38:39]
	v_fma_f64 v[183:184], v[6:7], s[18:19], -v[102:103]
	v_add_f64_e32 v[183:184], v[183:184], v[38:39]
	v_mul_f64_e32 v[38:39], s[10:11], v[10:11]
	v_mul_f64_e32 v[10:11], s[16:17], v[10:11]
	s_delay_alu instid0(VALU_DEP_2) | instskip(NEXT) | instid1(VALU_DEP_1)
	v_fma_f64 v[185:186], v[12:13], s[18:19], v[38:39]
	v_add_f64_e32 v[185:186], v[185:186], v[34:35]
	v_mul_f64_e32 v[34:35], s[30:31], v[193:194]
	s_delay_alu instid0(VALU_DEP_1) | instskip(NEXT) | instid1(VALU_DEP_1)
	v_fma_f64 v[187:188], v[223:224], s[22:23], -v[34:35]
	v_add_f64_e32 v[187:188], v[187:188], v[189:190]
	v_fma_f64 v[189:190], v[239:240], s[24:25], -v[199:200]
	s_delay_alu instid0(VALU_DEP_1) | instskip(SKIP_1) | instid1(VALU_DEP_1)
	v_add_f64_e32 v[187:188], v[189:190], v[187:188]
	v_fma_f64 v[189:190], v[251:252], s[12:13], -v[50:51]
	v_add_f64_e32 v[187:188], v[189:190], v[187:188]
	v_fma_f64 v[189:190], v[6:7], s[20:21], -v[54:55]
	s_delay_alu instid0(VALU_DEP_1) | instskip(SKIP_3) | instid1(VALU_DEP_2)
	v_add_f64_e32 v[187:188], v[189:190], v[187:188]
	v_add_f64_e32 v[189:190], v[58:59], v[46:47]
	v_mul_f64_e32 v[46:47], s[34:35], v[193:194]
	v_fma_f64 v[193:194], v[239:240], s[18:19], -v[197:198]
	v_fma_f64 v[58:59], v[223:224], s[24:25], -v[46:47]
	v_fma_f64 v[46:47], v[223:224], s[24:25], v[46:47]
	s_delay_alu instid0(VALU_DEP_2) | instskip(SKIP_1) | instid1(VALU_DEP_3)
	v_add_f64_e32 v[58:59], v[58:59], v[191:192]
	v_fma_f64 v[191:192], v[233:234], s[24:25], v[195:196]
	v_add_f64_e32 v[46:47], v[46:47], v[219:220]
	s_delay_alu instid0(VALU_DEP_3) | instskip(NEXT) | instid1(VALU_DEP_3)
	v_add_f64_e32 v[58:59], v[193:194], v[58:59]
	v_add_f64_e32 v[191:192], v[191:192], v[203:204]
	v_mul_f64_e32 v[203:204], s[10:11], v[243:244]
	s_delay_alu instid0(VALU_DEP_1) | instskip(NEXT) | instid1(VALU_DEP_1)
	v_fma_f64 v[193:194], v[245:246], s[18:19], v[203:204]
	v_add_f64_e32 v[191:192], v[193:194], v[191:192]
	v_fma_f64 v[193:194], v[251:252], s[20:21], -v[231:232]
	s_delay_alu instid0(VALU_DEP_1) | instskip(SKIP_2) | instid1(VALU_DEP_2)
	v_add_f64_e32 v[58:59], v[193:194], v[58:59]
	v_fma_f64 v[193:194], v[172:173], s[20:21], v[176:177]
	v_fma_f64 v[176:177], v[172:173], s[20:21], -v[176:177]
	v_add_f64_e32 v[193:194], v[193:194], v[191:192]
	v_fma_f64 v[191:192], v[6:7], s[22:23], -v[4:5]
	v_fma_f64 v[4:5], v[6:7], s[22:23], v[4:5]
	s_delay_alu instid0(VALU_DEP_2) | instskip(SKIP_2) | instid1(VALU_DEP_2)
	v_add_f64_e32 v[191:192], v[191:192], v[58:59]
	v_fma_f64 v[58:59], v[12:13], s[22:23], v[10:11]
	v_fma_f64 v[10:11], v[12:13], s[22:23], -v[10:11]
	v_add_f64_e32 v[193:194], v[58:59], v[193:194]
	v_fma_f64 v[58:59], v[233:234], s[24:25], -v[195:196]
	v_fma_f64 v[195:196], v[239:240], s[18:19], v[197:198]
	s_delay_alu instid0(VALU_DEP_2) | instskip(NEXT) | instid1(VALU_DEP_2)
	v_add_f64_e32 v[58:59], v[58:59], v[221:222]
	v_add_f64_e32 v[46:47], v[195:196], v[46:47]
	v_fma_f64 v[195:196], v[245:246], s[18:19], -v[203:204]
	s_delay_alu instid0(VALU_DEP_1) | instskip(SKIP_1) | instid1(VALU_DEP_2)
	v_add_f64_e32 v[58:59], v[195:196], v[58:59]
	v_fma_f64 v[195:196], v[251:252], s[20:21], v[231:232]
	v_add_f64_e32 v[58:59], v[176:177], v[58:59]
	s_delay_alu instid0(VALU_DEP_2) | instskip(NEXT) | instid1(VALU_DEP_2)
	v_add_f64_e32 v[46:47], v[195:196], v[46:47]
	v_add_f64_e32 v[197:198], v[10:11], v[58:59]
	s_delay_alu instid0(VALU_DEP_2) | instskip(SKIP_4) | instid1(VALU_DEP_4)
	v_add_f64_e32 v[195:196], v[4:5], v[46:47]
	v_fma_f64 v[4:5], v[223:224], s[22:23], v[34:35]
	v_fma_f64 v[10:11], v[233:234], s[22:23], -v[44:45]
	v_fma_f64 v[34:35], v[239:240], s[24:25], v[199:200]
	v_fma_f64 v[44:45], v[12:13], s[20:21], -v[56:57]
	v_add_f64_e32 v[4:5], v[4:5], v[201:202]
	s_delay_alu instid0(VALU_DEP_4) | instskip(NEXT) | instid1(VALU_DEP_2)
	v_add_f64_e32 v[10:11], v[10:11], v[211:212]
	v_add_f64_e32 v[4:5], v[34:35], v[4:5]
	v_fma_f64 v[34:35], v[245:246], s[24:25], -v[48:49]
	s_delay_alu instid0(VALU_DEP_1) | instskip(SKIP_1) | instid1(VALU_DEP_1)
	v_add_f64_e32 v[10:11], v[34:35], v[10:11]
	v_fma_f64 v[34:35], v[251:252], s[12:13], v[50:51]
	v_add_f64_e32 v[4:5], v[34:35], v[4:5]
	v_fma_f64 v[34:35], v[172:173], s[12:13], -v[52:53]
	s_delay_alu instid0(VALU_DEP_1) | instskip(SKIP_1) | instid1(VALU_DEP_2)
	v_add_f64_e32 v[10:11], v[34:35], v[10:11]
	v_fma_f64 v[34:35], v[6:7], s[20:21], v[54:55]
	v_add_f64_e32 v[201:202], v[44:45], v[10:11]
	s_delay_alu instid0(VALU_DEP_2) | instskip(SKIP_4) | instid1(VALU_DEP_4)
	v_add_f64_e32 v[199:200], v[34:35], v[4:5]
	v_fma_f64 v[4:5], v[223:224], s[12:13], v[18:19]
	v_fma_f64 v[10:11], v[233:234], s[12:13], -v[32:33]
	v_fma_f64 v[18:19], v[239:240], s[20:21], v[36:37]
	v_fma_f64 v[32:33], v[12:13], s[18:19], -v[38:39]
	v_add_f64_e32 v[4:5], v[4:5], v[205:206]
	s_delay_alu instid0(VALU_DEP_4) | instskip(NEXT) | instid1(VALU_DEP_2)
	v_add_f64_e32 v[10:11], v[10:11], v[209:210]
	v_add_f64_e32 v[4:5], v[18:19], v[4:5]
	v_fma_f64 v[18:19], v[245:246], s[20:21], -v[40:41]
	s_delay_alu instid0(VALU_DEP_1) | instskip(SKIP_1) | instid1(VALU_DEP_1)
	v_add_f64_e32 v[10:11], v[18:19], v[10:11]
	v_fma_f64 v[18:19], v[251:252], s[24:25], v[42:43]
	v_add_f64_e32 v[4:5], v[18:19], v[4:5]
	v_fma_f64 v[18:19], v[172:173], s[24:25], -v[100:101]
	s_delay_alu instid0(VALU_DEP_1) | instskip(SKIP_1) | instid1(VALU_DEP_2)
	v_add_f64_e32 v[10:11], v[18:19], v[10:11]
	v_fma_f64 v[18:19], v[6:7], s[18:19], v[102:103]
	v_add_f64_e32 v[205:206], v[32:33], v[10:11]
	s_delay_alu instid0(VALU_DEP_2) | instskip(SKIP_4) | instid1(VALU_DEP_4)
	v_add_f64_e32 v[203:204], v[18:19], v[4:5]
	v_fma_f64 v[4:5], v[233:234], s[18:19], -v[16:17]
	v_fma_f64 v[10:11], v[239:240], s[12:13], v[20:21]
	v_fma_f64 v[16:17], v[12:13], s[24:25], -v[22:23]
	v_fma_f64 v[18:19], v[251:252], s[18:19], -v[253:254]
	v_add_f64_e32 v[4:5], v[4:5], v[207:208]
	s_delay_alu instid0(VALU_DEP_4) | instskip(SKIP_1) | instid1(VALU_DEP_1)
	v_add_f64_e32 v[2:3], v[10:11], v[2:3]
	v_fma_f64 v[10:11], v[245:246], s[12:13], -v[24:25]
	v_add_f64_e32 v[4:5], v[10:11], v[4:5]
	v_fma_f64 v[10:11], v[251:252], s[22:23], v[26:27]
	s_delay_alu instid0(VALU_DEP_1) | instskip(SKIP_1) | instid1(VALU_DEP_1)
	v_add_f64_e32 v[2:3], v[10:11], v[2:3]
	v_fma_f64 v[10:11], v[172:173], s[22:23], -v[28:29]
	v_add_f64_e32 v[4:5], v[10:11], v[4:5]
	v_fma_f64 v[10:11], v[6:7], s[24:25], v[30:31]
	v_fma_f64 v[6:7], v[6:7], s[12:13], -v[8:9]
	v_fma_f64 v[8:9], v[12:13], s[12:13], v[14:15]
	s_delay_alu instid0(VALU_DEP_4) | instskip(NEXT) | instid1(VALU_DEP_4)
	v_add_f64_e32 v[209:210], v[16:17], v[4:5]
	v_add_f64_e32 v[207:208], v[10:11], v[2:3]
	v_fma_f64 v[2:3], v[223:224], s[20:21], -v[229:230]
	v_fma_f64 v[4:5], v[233:234], s[20:21], v[235:236]
	v_fma_f64 v[10:11], v[239:240], s[22:23], -v[241:242]
	v_fma_f64 v[16:17], v[245:246], s[22:23], v[247:248]
	s_delay_alu instid0(VALU_DEP_4) | instskip(NEXT) | instid1(VALU_DEP_4)
	v_add_f64_e32 v[2:3], v[2:3], v[213:214]
	v_add_f64_e32 v[4:5], v[4:5], v[215:216]
	s_delay_alu instid0(VALU_DEP_2) | instskip(NEXT) | instid1(VALU_DEP_2)
	v_add_f64_e32 v[2:3], v[10:11], v[2:3]
	v_add_f64_e32 v[4:5], v[16:17], v[4:5]
	s_delay_alu instid0(VALU_DEP_2) | instskip(NEXT) | instid1(VALU_DEP_2)
	v_add_f64_e32 v[2:3], v[18:19], v[2:3]
	v_add_f64_e32 v[0:1], v[0:1], v[4:5]
	s_delay_alu instid0(VALU_DEP_2) | instskip(NEXT) | instid1(VALU_DEP_2)
	v_add_f64_e32 v[211:212], v[6:7], v[2:3]
	v_add_f64_e32 v[213:214], v[8:9], v[0:1]
	v_add_f64_e32 v[0:1], v[225:226], v[138:139]
	v_add_f64_e32 v[2:3], v[227:228], v[140:141]
	s_delay_alu instid0(VALU_DEP_2) | instskip(NEXT) | instid1(VALU_DEP_2)
	v_add_f64_e32 v[0:1], v[0:1], v[146:147]
	v_add_f64_e32 v[2:3], v[2:3], v[148:149]
	s_delay_alu instid0(VALU_DEP_2) | instskip(NEXT) | instid1(VALU_DEP_2)
	v_add_f64_e32 v[0:1], v[0:1], v[150:151]
	v_add_f64_e32 v[2:3], v[2:3], v[154:155]
	;; [unrolled: 3-line block ×8, first 2 shown]
	ds_store_b128 v174, v[179:182] offset:2112
	ds_store_b128 v174, v[183:186] offset:3168
	;; [unrolled: 1-line block ×10, first 2 shown]
	ds_store_b128 v174, v[134:137]
	global_wb scope:SCOPE_SE
	s_wait_dscnt 0x0
	s_barrier_signal -1
	s_barrier_wait -1
	global_inv scope:SCOPE_SE
	global_load_b128 v[128:131], v[132:133], off offset:11616
	ds_load_b128 v[132:135], v174
	ds_load_b128 v[136:139], v174 offset:1056
	s_clause 0x1
	global_load_b128 v[140:143], v166, s[8:9] offset:1056
	global_load_b128 v[144:147], v166, s[8:9] offset:2112
	s_wait_loadcnt_dscnt 0x201
	v_mul_f64_e32 v[0:1], v[134:135], v[130:131]
	v_mul_f64_e32 v[2:3], v[132:133], v[130:131]
	s_delay_alu instid0(VALU_DEP_2) | instskip(NEXT) | instid1(VALU_DEP_2)
	v_fma_f64 v[130:131], v[132:133], v[128:129], -v[0:1]
	v_fma_f64 v[132:133], v[134:135], v[128:129], v[2:3]
	s_wait_loadcnt_dscnt 0x100
	v_mul_f64_e32 v[0:1], v[138:139], v[142:143]
	v_mul_f64_e32 v[2:3], v[136:137], v[142:143]
	s_delay_alu instid0(VALU_DEP_2) | instskip(NEXT) | instid1(VALU_DEP_2)
	v_fma_f64 v[134:135], v[136:137], v[140:141], -v[0:1]
	v_fma_f64 v[136:137], v[138:139], v[140:141], v[2:3]
	ds_load_b128 v[138:141], v174 offset:2112
	ds_load_b128 v[148:151], v174 offset:3168
	s_wait_loadcnt_dscnt 0x1
	v_mul_f64_e32 v[0:1], v[140:141], v[146:147]
	v_mul_f64_e32 v[2:3], v[138:139], v[146:147]
	s_delay_alu instid0(VALU_DEP_2) | instskip(NEXT) | instid1(VALU_DEP_2)
	v_fma_f64 v[138:139], v[138:139], v[144:145], -v[0:1]
	v_fma_f64 v[140:141], v[140:141], v[144:145], v[2:3]
	s_clause 0x1
	global_load_b128 v[142:145], v166, s[8:9] offset:3168
	global_load_b128 v[152:155], v166, s[8:9] offset:4224
	s_wait_loadcnt_dscnt 0x100
	v_mul_f64_e32 v[0:1], v[150:151], v[144:145]
	v_mul_f64_e32 v[2:3], v[148:149], v[144:145]
	s_delay_alu instid0(VALU_DEP_2) | instskip(NEXT) | instid1(VALU_DEP_2)
	v_fma_f64 v[144:145], v[148:149], v[142:143], -v[0:1]
	v_fma_f64 v[146:147], v[150:151], v[142:143], v[2:3]
	ds_load_b128 v[148:151], v174 offset:4224
	ds_load_b128 v[156:159], v174 offset:5280
	s_wait_loadcnt_dscnt 0x1
	v_mul_f64_e32 v[0:1], v[150:151], v[154:155]
	v_mul_f64_e32 v[2:3], v[148:149], v[154:155]
	s_delay_alu instid0(VALU_DEP_2) | instskip(NEXT) | instid1(VALU_DEP_2)
	v_fma_f64 v[148:149], v[148:149], v[152:153], -v[0:1]
	v_fma_f64 v[150:151], v[150:151], v[152:153], v[2:3]
	s_clause 0x1
	global_load_b128 v[152:155], v166, s[8:9] offset:5280
	global_load_b128 v[160:163], v166, s[8:9] offset:6336
	ds_load_b128 v[168:171], v174 offset:6336
	ds_load_b128 v[179:182], v174 offset:7392
	s_wait_loadcnt_dscnt 0x102
	v_mul_f64_e32 v[0:1], v[158:159], v[154:155]
	v_mul_f64_e32 v[2:3], v[156:157], v[154:155]
	s_delay_alu instid0(VALU_DEP_2) | instskip(NEXT) | instid1(VALU_DEP_2)
	v_fma_f64 v[154:155], v[156:157], v[152:153], -v[0:1]
	v_fma_f64 v[156:157], v[158:159], v[152:153], v[2:3]
	s_wait_loadcnt_dscnt 0x1
	v_mul_f64_e32 v[0:1], v[170:171], v[162:163]
	v_mul_f64_e32 v[2:3], v[168:169], v[162:163]
	s_delay_alu instid0(VALU_DEP_2) | instskip(NEXT) | instid1(VALU_DEP_2)
	v_fma_f64 v[158:159], v[168:169], v[160:161], -v[0:1]
	v_fma_f64 v[160:161], v[170:171], v[160:161], v[2:3]
	s_clause 0x1
	global_load_b128 v[162:165], v166, s[8:9] offset:7392
	global_load_b128 v[168:171], v166, s[8:9] offset:8448
	s_wait_loadcnt_dscnt 0x100
	v_mul_f64_e32 v[0:1], v[181:182], v[164:165]
	v_mul_f64_e32 v[2:3], v[179:180], v[164:165]
	s_delay_alu instid0(VALU_DEP_2) | instskip(NEXT) | instid1(VALU_DEP_2)
	v_fma_f64 v[179:180], v[179:180], v[162:163], -v[0:1]
	v_fma_f64 v[181:182], v[181:182], v[162:163], v[2:3]
	ds_load_b128 v[162:165], v174 offset:8448
	ds_load_b128 v[183:186], v174 offset:9504
	s_wait_loadcnt_dscnt 0x1
	v_mul_f64_e32 v[0:1], v[164:165], v[170:171]
	v_mul_f64_e32 v[2:3], v[162:163], v[170:171]
	s_delay_alu instid0(VALU_DEP_2) | instskip(NEXT) | instid1(VALU_DEP_2)
	v_fma_f64 v[162:163], v[162:163], v[168:169], -v[0:1]
	v_fma_f64 v[164:165], v[164:165], v[168:169], v[2:3]
	s_clause 0x1
	global_load_b128 v[168:171], v166, s[8:9] offset:9504
	global_load_b128 v[187:190], v166, s[8:9] offset:10560
	s_mov_b32 s9, 0x3fe82f19
	s_mov_b32 s8, s10
	s_wait_loadcnt_dscnt 0x100
	v_mul_f64_e32 v[0:1], v[185:186], v[170:171]
	v_mul_f64_e32 v[2:3], v[183:184], v[170:171]
	s_delay_alu instid0(VALU_DEP_2) | instskip(NEXT) | instid1(VALU_DEP_2)
	v_fma_f64 v[183:184], v[183:184], v[168:169], -v[0:1]
	v_fma_f64 v[185:186], v[185:186], v[168:169], v[2:3]
	ds_load_b128 v[168:171], v174 offset:10560
	s_wait_loadcnt_dscnt 0x0
	v_mul_f64_e32 v[0:1], v[170:171], v[189:190]
	v_mul_f64_e32 v[2:3], v[168:169], v[189:190]
	s_delay_alu instid0(VALU_DEP_2) | instskip(NEXT) | instid1(VALU_DEP_2)
	v_fma_f64 v[168:169], v[168:169], v[187:188], -v[0:1]
	v_fma_f64 v[170:171], v[170:171], v[187:188], v[2:3]
	ds_store_b128 v174, v[130:133]
	ds_store_b128 v174, v[134:137] offset:1056
	ds_store_b128 v174, v[138:141] offset:2112
	;; [unrolled: 1-line block ×10, first 2 shown]
	global_wb scope:SCOPE_SE
	s_wait_dscnt 0x0
	s_barrier_signal -1
	s_barrier_wait -1
	global_inv scope:SCOPE_SE
	ds_load_b128 v[128:131], v174
	ds_load_b128 v[132:135], v174 offset:1056
	ds_load_b128 v[136:139], v174 offset:2112
	;; [unrolled: 1-line block ×7, first 2 shown]
	s_wait_dscnt 0x6
	v_add_f64_e32 v[0:1], v[128:129], v[132:133]
	v_add_f64_e32 v[2:3], v[130:131], v[134:135]
	s_wait_dscnt 0x1
	v_add_f64_e32 v[4:5], v[148:149], v[152:153]
	v_add_f64_e32 v[6:7], v[150:151], v[154:155]
	v_add_f64_e64 v[8:9], v[148:149], -v[152:153]
	v_add_f64_e64 v[10:11], v[150:151], -v[154:155]
	s_wait_dscnt 0x0
	v_add_f64_e32 v[12:13], v[144:145], v[156:157]
	v_add_f64_e32 v[14:15], v[146:147], v[158:159]
	v_add_f64_e64 v[16:17], v[146:147], -v[158:159]
	v_add_f64_e64 v[18:19], v[144:145], -v[156:157]
	v_add_f64_e32 v[0:1], v[0:1], v[136:137]
	v_add_f64_e32 v[2:3], v[2:3], v[138:139]
	v_mul_f64_e32 v[176:177], s[34:35], v[10:11]
	v_mul_f64_e32 v[191:192], s[10:11], v[10:11]
	;; [unrolled: 1-line block ×15, first 2 shown]
	v_add_f64_e32 v[0:1], v[0:1], v[140:141]
	v_add_f64_e32 v[2:3], v[2:3], v[142:143]
	s_delay_alu instid0(VALU_DEP_2) | instskip(NEXT) | instid1(VALU_DEP_2)
	v_add_f64_e32 v[0:1], v[0:1], v[144:145]
	v_add_f64_e32 v[2:3], v[2:3], v[146:147]
	s_delay_alu instid0(VALU_DEP_2) | instskip(NEXT) | instid1(VALU_DEP_2)
	v_add_f64_e32 v[0:1], v[0:1], v[148:149]
	v_add_f64_e32 v[2:3], v[2:3], v[150:151]
	ds_load_b128 v[144:147], v174 offset:8448
	ds_load_b128 v[148:151], v174 offset:9504
	s_wait_dscnt 0x1
	v_add_f64_e32 v[24:25], v[140:141], v[144:145]
	s_wait_dscnt 0x0
	v_add_f64_e64 v[28:29], v[138:139], -v[150:151]
	v_add_f64_e32 v[30:31], v[138:139], v[150:151]
	v_add_f64_e32 v[32:33], v[136:137], v[148:149]
	v_add_f64_e64 v[34:35], v[136:137], -v[148:149]
	ds_load_b128 v[136:139], v174 offset:10560
	v_add_f64_e64 v[26:27], v[140:141], -v[144:145]
	v_add_f64_e64 v[20:21], v[142:143], -v[146:147]
	v_add_f64_e32 v[22:23], v[142:143], v[146:147]
	global_wb scope:SCOPE_SE
	s_wait_dscnt 0x0
	s_barrier_signal -1
	s_barrier_wait -1
	global_inv scope:SCOPE_SE
	v_add_f64_e32 v[0:1], v[0:1], v[152:153]
	v_add_f64_e32 v[2:3], v[2:3], v[154:155]
	v_add_f64_e64 v[36:37], v[134:135], -v[138:139]
	v_add_f64_e32 v[38:39], v[134:135], v[138:139]
	v_add_f64_e32 v[40:41], v[132:133], v[136:137]
	v_add_f64_e64 v[42:43], v[132:133], -v[136:137]
	v_mul_f64_e32 v[179:180], s[28:29], v[28:29]
	v_mul_f64_e32 v[142:143], s[18:19], v[30:31]
	;; [unrolled: 1-line block ×8, first 2 shown]
	v_add_f64_e32 v[0:1], v[0:1], v[156:157]
	v_add_f64_e32 v[2:3], v[2:3], v[158:159]
	v_mul_f64_e32 v[44:45], s[16:17], v[36:37]
	v_mul_f64_e32 v[46:47], s[10:11], v[36:37]
	;; [unrolled: 1-line block ×5, first 2 shown]
	v_add_f64_e32 v[0:1], v[0:1], v[144:145]
	v_add_f64_e32 v[2:3], v[2:3], v[146:147]
	v_mul_f64_e32 v[144:145], s[28:29], v[20:21]
	v_mul_f64_e32 v[146:147], s[12:13], v[22:23]
	;; [unrolled: 1-line block ×3, first 2 shown]
	v_fma_f64 v[52:53], v[40:41], s[22:23], v[44:45]
	v_fma_f64 v[44:45], v[40:41], s[22:23], -v[44:45]
	v_fma_f64 v[54:55], v[40:41], s[18:19], v[46:47]
	v_fma_f64 v[46:47], v[40:41], s[18:19], -v[46:47]
	v_fma_f64 v[134:135], v[42:43], s[36:37], v[58:59]
	v_fma_f64 v[58:59], v[42:43], s[14:15], v[58:59]
	v_add_f64_e32 v[0:1], v[0:1], v[148:149]
	v_add_f64_e32 v[2:3], v[2:3], v[150:151]
	;; [unrolled: 1-line block ×9, first 2 shown]
	v_mul_f64_e32 v[0:1], s[26:27], v[36:37]
	v_mul_f64_e32 v[2:3], s[14:15], v[36:37]
	v_mul_f64_e32 v[36:37], s[2:3], v[36:37]
	v_fma_f64 v[136:137], v[42:43], s[30:31], v[100:101]
	s_wait_alu 0xfffe
	v_fma_f64 v[138:139], v[42:43], s[8:9], v[102:103]
	v_fma_f64 v[100:101], v[42:43], s[16:17], v[100:101]
	;; [unrolled: 1-line block ×4, first 2 shown]
	v_fma_f64 v[0:1], v[40:41], s[24:25], -v[0:1]
	v_fma_f64 v[50:51], v[40:41], s[20:21], v[2:3]
	v_fma_f64 v[2:3], v[40:41], s[20:21], -v[2:3]
	v_fma_f64 v[56:57], v[40:41], s[12:13], v[36:37]
	v_fma_f64 v[36:37], v[40:41], s[12:13], -v[36:37]
	v_mul_f64_e32 v[40:41], s[24:25], v[38:39]
	v_mul_f64_e32 v[38:39], s[12:13], v[38:39]
	v_add_f64_e32 v[100:101], v[130:131], v[100:101]
	v_add_f64_e32 v[102:103], v[130:131], v[102:103]
	;; [unrolled: 1-line block ×7, first 2 shown]
	v_fma_f64 v[132:133], v[42:43], s[26:27], v[40:41]
	v_fma_f64 v[140:141], v[42:43], s[28:29], v[38:39]
	;; [unrolled: 1-line block ×4, first 2 shown]
	v_add_f64_e32 v[42:43], v[128:129], v[48:49]
	v_add_f64_e32 v[48:49], v[130:131], v[132:133]
	;; [unrolled: 1-line block ×6, first 2 shown]
	v_mul_f64_e32 v[140:141], s[10:11], v[28:29]
	v_add_f64_e32 v[40:41], v[130:131], v[40:41]
	v_add_f64_e32 v[38:39], v[130:131], v[38:39]
	v_fma_f64 v[130:131], v[24:25], s[12:13], v[144:145]
	s_delay_alu instid0(VALU_DEP_4) | instskip(NEXT) | instid1(VALU_DEP_1)
	v_fma_f64 v[128:129], v[32:33], s[18:19], v[140:141]
	v_add_f64_e32 v[50:51], v[128:129], v[50:51]
	v_fma_f64 v[128:129], v[34:35], s[8:9], v[142:143]
	s_delay_alu instid0(VALU_DEP_2) | instskip(NEXT) | instid1(VALU_DEP_2)
	v_add_f64_e32 v[50:51], v[130:131], v[50:51]
	v_add_f64_e32 v[128:129], v[128:129], v[132:133]
	v_fma_f64 v[130:131], v[26:27], s[2:3], v[146:147]
	v_mul_f64_e32 v[132:133], s[30:31], v[28:29]
	s_delay_alu instid0(VALU_DEP_2) | instskip(SKIP_1) | instid1(VALU_DEP_1)
	v_add_f64_e32 v[128:129], v[130:131], v[128:129]
	v_fma_f64 v[130:131], v[12:13], s[22:23], v[164:165]
	v_add_f64_e32 v[50:51], v[130:131], v[50:51]
	v_fma_f64 v[130:131], v[18:19], s[16:17], v[172:173]
	s_delay_alu instid0(VALU_DEP_1) | instskip(SKIP_1) | instid1(VALU_DEP_1)
	v_add_f64_e32 v[128:129], v[130:131], v[128:129]
	v_fma_f64 v[130:131], v[4:5], s[24:25], v[176:177]
	v_add_f64_e32 v[152:153], v[130:131], v[50:51]
	v_mul_f64_e32 v[50:51], s[24:25], v[6:7]
	s_delay_alu instid0(VALU_DEP_1) | instskip(NEXT) | instid1(VALU_DEP_1)
	v_fma_f64 v[130:131], v[8:9], s[26:27], v[50:51]
	v_add_f64_e32 v[154:155], v[130:131], v[128:129]
	v_fma_f64 v[128:129], v[32:33], s[12:13], v[179:180]
	v_fma_f64 v[130:131], v[24:25], s[20:21], v[183:184]
	s_delay_alu instid0(VALU_DEP_2) | instskip(SKIP_1) | instid1(VALU_DEP_2)
	v_add_f64_e32 v[52:53], v[128:129], v[52:53]
	v_fma_f64 v[128:129], v[34:35], s[2:3], v[181:182]
	v_add_f64_e32 v[52:53], v[130:131], v[52:53]
	s_delay_alu instid0(VALU_DEP_2) | instskip(SKIP_2) | instid1(VALU_DEP_2)
	v_add_f64_e32 v[128:129], v[128:129], v[134:135]
	v_fma_f64 v[130:131], v[26:27], s[14:15], v[185:186]
	v_mul_f64_e32 v[134:135], s[22:23], v[30:31]
	v_add_f64_e32 v[128:129], v[130:131], v[128:129]
	v_fma_f64 v[130:131], v[12:13], s[24:25], v[187:188]
	s_delay_alu instid0(VALU_DEP_1) | instskip(SKIP_1) | instid1(VALU_DEP_1)
	v_add_f64_e32 v[52:53], v[130:131], v[52:53]
	v_fma_f64 v[130:131], v[18:19], s[34:35], v[189:190]
	v_add_f64_e32 v[128:129], v[130:131], v[128:129]
	v_fma_f64 v[130:131], v[4:5], s[18:19], v[191:192]
	s_delay_alu instid0(VALU_DEP_1) | instskip(SKIP_1) | instid1(VALU_DEP_1)
	v_add_f64_e32 v[156:157], v[130:131], v[52:53]
	v_mul_f64_e32 v[52:53], s[18:19], v[6:7]
	v_fma_f64 v[130:131], v[8:9], s[8:9], v[52:53]
	s_delay_alu instid0(VALU_DEP_1) | instskip(SKIP_1) | instid1(VALU_DEP_1)
	v_add_f64_e32 v[158:159], v[130:131], v[128:129]
	v_fma_f64 v[128:129], v[32:33], s[22:23], v[132:133]
	v_add_f64_e32 v[54:55], v[128:129], v[54:55]
	v_fma_f64 v[128:129], v[34:35], s[16:17], v[134:135]
	s_delay_alu instid0(VALU_DEP_1) | instskip(SKIP_2) | instid1(VALU_DEP_2)
	v_add_f64_e32 v[128:129], v[128:129], v[136:137]
	v_mul_f64_e32 v[136:137], s[26:27], v[20:21]
	v_mul_f64_e32 v[20:21], s[16:17], v[20:21]
	v_fma_f64 v[130:131], v[24:25], s[24:25], v[136:137]
	s_delay_alu instid0(VALU_DEP_1) | instskip(SKIP_1) | instid1(VALU_DEP_1)
	v_add_f64_e32 v[54:55], v[130:131], v[54:55]
	v_fma_f64 v[130:131], v[26:27], s[34:35], v[193:194]
	v_add_f64_e32 v[128:129], v[130:131], v[128:129]
	v_fma_f64 v[130:131], v[12:13], s[12:13], v[195:196]
	s_delay_alu instid0(VALU_DEP_1) | instskip(SKIP_1) | instid1(VALU_DEP_1)
	v_add_f64_e32 v[54:55], v[130:131], v[54:55]
	v_fma_f64 v[130:131], v[18:19], s[28:29], v[197:198]
	v_add_f64_e32 v[128:129], v[130:131], v[128:129]
	v_fma_f64 v[130:131], v[4:5], s[20:21], v[199:200]
	s_delay_alu instid0(VALU_DEP_1) | instskip(SKIP_1) | instid1(VALU_DEP_1)
	v_add_f64_e32 v[160:161], v[130:131], v[54:55]
	v_mul_f64_e32 v[54:55], s[20:21], v[6:7]
	v_fma_f64 v[130:131], v[8:9], s[14:15], v[54:55]
	v_fma_f64 v[54:55], v[8:9], s[36:37], v[54:55]
	s_delay_alu instid0(VALU_DEP_2) | instskip(SKIP_1) | instid1(VALU_DEP_1)
	v_add_f64_e32 v[162:163], v[130:131], v[128:129]
	v_mul_f64_e32 v[128:129], s[34:35], v[28:29]
	v_fma_f64 v[130:131], v[32:33], s[24:25], v[128:129]
	v_fma_f64 v[128:129], v[32:33], s[24:25], -v[128:129]
	s_delay_alu instid0(VALU_DEP_2) | instskip(SKIP_1) | instid1(VALU_DEP_3)
	v_add_f64_e32 v[56:57], v[130:131], v[56:57]
	v_mul_f64_e32 v[130:131], s[24:25], v[30:31]
	v_add_f64_e32 v[36:37], v[128:129], v[36:37]
	v_mul_f64_e32 v[30:31], s[20:21], v[30:31]
	s_delay_alu instid0(VALU_DEP_3) | instskip(SKIP_1) | instid1(VALU_DEP_2)
	v_fma_f64 v[168:169], v[34:35], s[26:27], v[130:131]
	v_fma_f64 v[128:129], v[34:35], s[34:35], v[130:131]
	v_add_f64_e32 v[138:139], v[168:169], v[138:139]
	v_fma_f64 v[168:169], v[24:25], s[18:19], v[201:202]
	s_delay_alu instid0(VALU_DEP_3) | instskip(SKIP_1) | instid1(VALU_DEP_3)
	v_add_f64_e32 v[38:39], v[128:129], v[38:39]
	v_fma_f64 v[128:129], v[24:25], s[18:19], -v[201:202]
	v_add_f64_e32 v[56:57], v[168:169], v[56:57]
	v_fma_f64 v[168:169], v[26:27], s[8:9], v[203:204]
	s_delay_alu instid0(VALU_DEP_3) | instskip(SKIP_1) | instid1(VALU_DEP_3)
	v_add_f64_e32 v[36:37], v[128:129], v[36:37]
	v_fma_f64 v[128:129], v[26:27], s[10:11], v[203:204]
	v_add_f64_e32 v[138:139], v[168:169], v[138:139]
	v_fma_f64 v[168:169], v[12:13], s[20:21], v[205:206]
	s_delay_alu instid0(VALU_DEP_3) | instskip(SKIP_1) | instid1(VALU_DEP_3)
	v_add_f64_e32 v[38:39], v[128:129], v[38:39]
	v_fma_f64 v[128:129], v[12:13], s[20:21], -v[205:206]
	v_add_f64_e32 v[56:57], v[168:169], v[56:57]
	v_fma_f64 v[168:169], v[18:19], s[14:15], v[207:208]
	s_delay_alu instid0(VALU_DEP_3) | instskip(SKIP_1) | instid1(VALU_DEP_3)
	v_add_f64_e32 v[36:37], v[128:129], v[36:37]
	v_fma_f64 v[128:129], v[18:19], s[36:37], v[207:208]
	v_add_f64_e32 v[138:139], v[168:169], v[138:139]
	v_fma_f64 v[168:169], v[4:5], s[22:23], v[209:210]
	s_delay_alu instid0(VALU_DEP_3) | instskip(SKIP_1) | instid1(VALU_DEP_3)
	v_add_f64_e32 v[38:39], v[128:129], v[38:39]
	v_fma_f64 v[128:129], v[4:5], s[22:23], -v[209:210]
	v_add_f64_e32 v[168:169], v[168:169], v[56:57]
	v_mul_f64_e32 v[56:57], s[22:23], v[6:7]
	s_delay_alu instid0(VALU_DEP_3) | instskip(SKIP_2) | instid1(VALU_DEP_4)
	v_add_f64_e32 v[128:129], v[128:129], v[36:37]
	v_fma_f64 v[36:37], v[32:33], s[22:23], -v[132:133]
	v_mul_f64_e32 v[6:7], s[12:13], v[6:7]
	v_fma_f64 v[170:171], v[8:9], s[30:31], v[56:57]
	v_fma_f64 v[56:57], v[8:9], s[16:17], v[56:57]
	s_delay_alu instid0(VALU_DEP_4) | instskip(SKIP_1) | instid1(VALU_DEP_4)
	v_add_f64_e32 v[36:37], v[36:37], v[46:47]
	v_fma_f64 v[46:47], v[24:25], s[24:25], -v[136:137]
	v_add_f64_e32 v[170:171], v[170:171], v[138:139]
	s_delay_alu instid0(VALU_DEP_4) | instskip(SKIP_1) | instid1(VALU_DEP_4)
	v_add_f64_e32 v[130:131], v[56:57], v[38:39]
	v_fma_f64 v[38:39], v[34:35], s[30:31], v[134:135]
	v_add_f64_e32 v[36:37], v[46:47], v[36:37]
	v_fma_f64 v[46:47], v[26:27], s[26:27], v[193:194]
	s_delay_alu instid0(VALU_DEP_3) | instskip(NEXT) | instid1(VALU_DEP_1)
	v_add_f64_e32 v[38:39], v[38:39], v[102:103]
	v_add_f64_e32 v[38:39], v[46:47], v[38:39]
	v_fma_f64 v[46:47], v[12:13], s[12:13], -v[195:196]
	s_delay_alu instid0(VALU_DEP_1) | instskip(SKIP_1) | instid1(VALU_DEP_1)
	v_add_f64_e32 v[36:37], v[46:47], v[36:37]
	v_fma_f64 v[46:47], v[18:19], s[2:3], v[197:198]
	v_add_f64_e32 v[38:39], v[46:47], v[38:39]
	v_fma_f64 v[46:47], v[4:5], s[20:21], -v[199:200]
	s_delay_alu instid0(VALU_DEP_2) | instskip(NEXT) | instid1(VALU_DEP_2)
	v_add_f64_e32 v[134:135], v[54:55], v[38:39]
	v_add_f64_e32 v[132:133], v[46:47], v[36:37]
	v_fma_f64 v[36:37], v[32:33], s[12:13], -v[179:180]
	v_fma_f64 v[38:39], v[34:35], s[28:29], v[181:182]
	v_fma_f64 v[46:47], v[8:9], s[10:11], v[52:53]
	s_delay_alu instid0(VALU_DEP_3) | instskip(SKIP_1) | instid1(VALU_DEP_4)
	v_add_f64_e32 v[36:37], v[36:37], v[44:45]
	v_fma_f64 v[44:45], v[24:25], s[20:21], -v[183:184]
	v_add_f64_e32 v[38:39], v[38:39], v[100:101]
	s_delay_alu instid0(VALU_DEP_2) | instskip(SKIP_1) | instid1(VALU_DEP_1)
	v_add_f64_e32 v[36:37], v[44:45], v[36:37]
	v_fma_f64 v[44:45], v[26:27], s[36:37], v[185:186]
	v_add_f64_e32 v[38:39], v[44:45], v[38:39]
	v_fma_f64 v[44:45], v[12:13], s[24:25], -v[187:188]
	s_delay_alu instid0(VALU_DEP_1) | instskip(SKIP_1) | instid1(VALU_DEP_1)
	v_add_f64_e32 v[36:37], v[44:45], v[36:37]
	v_fma_f64 v[44:45], v[18:19], s[26:27], v[189:190]
	v_add_f64_e32 v[38:39], v[44:45], v[38:39]
	v_fma_f64 v[44:45], v[4:5], s[18:19], -v[191:192]
	s_delay_alu instid0(VALU_DEP_2) | instskip(NEXT) | instid1(VALU_DEP_2)
	v_add_f64_e32 v[138:139], v[46:47], v[38:39]
	v_add_f64_e32 v[136:137], v[44:45], v[36:37]
	v_fma_f64 v[36:37], v[32:33], s[18:19], -v[140:141]
	v_fma_f64 v[38:39], v[24:25], s[12:13], -v[144:145]
	v_fma_f64 v[44:45], v[8:9], s[34:35], v[50:51]
	s_delay_alu instid0(VALU_DEP_3) | instskip(SKIP_1) | instid1(VALU_DEP_2)
	v_add_f64_e32 v[2:3], v[36:37], v[2:3]
	v_fma_f64 v[36:37], v[34:35], s[10:11], v[142:143]
	v_add_f64_e32 v[2:3], v[38:39], v[2:3]
	s_delay_alu instid0(VALU_DEP_2) | instskip(SKIP_1) | instid1(VALU_DEP_1)
	v_add_f64_e32 v[36:37], v[36:37], v[58:59]
	v_fma_f64 v[38:39], v[26:27], s[28:29], v[146:147]
	v_add_f64_e32 v[36:37], v[38:39], v[36:37]
	v_fma_f64 v[38:39], v[12:13], s[22:23], -v[164:165]
	s_delay_alu instid0(VALU_DEP_1) | instskip(SKIP_1) | instid1(VALU_DEP_1)
	v_add_f64_e32 v[2:3], v[38:39], v[2:3]
	v_fma_f64 v[38:39], v[18:19], s[30:31], v[172:173]
	v_add_f64_e32 v[36:37], v[38:39], v[36:37]
	v_fma_f64 v[38:39], v[4:5], s[24:25], -v[176:177]
	s_delay_alu instid0(VALU_DEP_2) | instskip(NEXT) | instid1(VALU_DEP_2)
	v_add_f64_e32 v[142:143], v[44:45], v[36:37]
	v_add_f64_e32 v[140:141], v[38:39], v[2:3]
	v_mul_f64_e32 v[2:3], s[14:15], v[28:29]
	v_fma_f64 v[36:37], v[34:35], s[36:37], v[30:31]
	v_fma_f64 v[38:39], v[24:25], s[22:23], v[20:21]
	v_fma_f64 v[20:21], v[24:25], s[22:23], -v[20:21]
	s_delay_alu instid0(VALU_DEP_4) | instskip(NEXT) | instid1(VALU_DEP_4)
	v_fma_f64 v[28:29], v[32:33], s[20:21], v[2:3]
	v_add_f64_e32 v[36:37], v[36:37], v[40:41]
	v_fma_f64 v[2:3], v[32:33], s[20:21], -v[2:3]
	s_delay_alu instid0(VALU_DEP_3) | instskip(NEXT) | instid1(VALU_DEP_2)
	v_add_f64_e32 v[28:29], v[28:29], v[42:43]
	v_add_f64_e32 v[0:1], v[2:3], v[0:1]
	s_delay_alu instid0(VALU_DEP_2) | instskip(SKIP_2) | instid1(VALU_DEP_4)
	v_add_f64_e32 v[28:29], v[38:39], v[28:29]
	v_fma_f64 v[38:39], v[26:27], s[30:31], v[22:23]
	v_fma_f64 v[22:23], v[26:27], s[16:17], v[22:23]
	v_add_f64_e32 v[0:1], v[20:21], v[0:1]
	s_delay_alu instid0(VALU_DEP_3) | instskip(SKIP_2) | instid1(VALU_DEP_2)
	v_add_f64_e32 v[36:37], v[38:39], v[36:37]
	v_fma_f64 v[38:39], v[12:13], s[18:19], v[16:17]
	v_fma_f64 v[12:13], v[12:13], s[18:19], -v[16:17]
	v_add_f64_e32 v[28:29], v[38:39], v[28:29]
	v_fma_f64 v[38:39], v[18:19], s[8:9], v[14:15]
	v_fma_f64 v[14:15], v[18:19], s[10:11], v[14:15]
	s_delay_alu instid0(VALU_DEP_4) | instskip(NEXT) | instid1(VALU_DEP_3)
	v_add_f64_e32 v[0:1], v[12:13], v[0:1]
	v_add_f64_e32 v[36:37], v[38:39], v[36:37]
	v_fma_f64 v[38:39], v[4:5], s[12:13], v[10:11]
	v_fma_f64 v[4:5], v[4:5], s[12:13], -v[10:11]
	s_delay_alu instid0(VALU_DEP_2) | instskip(SKIP_2) | instid1(VALU_DEP_4)
	v_add_f64_e32 v[179:180], v[38:39], v[28:29]
	v_fma_f64 v[28:29], v[8:9], s[28:29], v[6:7]
	v_fma_f64 v[6:7], v[8:9], s[2:3], v[6:7]
	v_add_f64_e32 v[144:145], v[4:5], v[0:1]
	s_delay_alu instid0(VALU_DEP_3) | instskip(SKIP_1) | instid1(VALU_DEP_1)
	v_add_f64_e32 v[181:182], v[28:29], v[36:37]
	v_fma_f64 v[28:29], v[34:35], s[14:15], v[30:31]
	v_add_f64_e32 v[2:3], v[28:29], v[48:49]
	s_delay_alu instid0(VALU_DEP_1) | instskip(NEXT) | instid1(VALU_DEP_1)
	v_add_f64_e32 v[2:3], v[22:23], v[2:3]
	v_add_f64_e32 v[2:3], v[14:15], v[2:3]
	s_delay_alu instid0(VALU_DEP_1)
	v_add_f64_e32 v[146:147], v[6:7], v[2:3]
	ds_store_b128 v167, v[152:155] offset:32
	ds_store_b128 v167, v[156:159] offset:48
	ds_store_b128 v167, v[160:163] offset:64
	ds_store_b128 v167, v[168:171] offset:80
	ds_store_b128 v167, v[179:182] offset:16
	ds_store_b128 v167, v[148:151]
	ds_store_b128 v167, v[128:131] offset:96
	ds_store_b128 v167, v[132:135] offset:112
	;; [unrolled: 1-line block ×5, first 2 shown]
	global_wb scope:SCOPE_SE
	s_wait_dscnt 0x0
	s_barrier_signal -1
	s_barrier_wait -1
	global_inv scope:SCOPE_SE
	ds_load_b128 v[148:151], v174
	ds_load_b128 v[152:155], v174 offset:1936
	ds_load_b128 v[156:159], v174 offset:3872
	;; [unrolled: 1-line block ×5, first 2 shown]
	s_and_saveexec_b32 s2, vcc_lo
	s_cbranch_execz .LBB0_7
; %bb.6:
	ds_load_b128 v[128:131], v174 offset:1056
	ds_load_b128 v[132:135], v174 offset:2992
	;; [unrolled: 1-line block ×6, first 2 shown]
	s_wait_dscnt 0x0
	scratch_store_b128 off, v[0:3], off     ; 16-byte Folded Spill
.LBB0_7:
	s_wait_alu 0xfffe
	s_or_b32 exec_lo, exec_lo, s2
	s_wait_dscnt 0x2
	v_mul_f64_e32 v[0:1], v[66:67], v[164:165]
	s_wait_dscnt 0x0
	v_mul_f64_e32 v[2:3], v[70:71], v[168:169]
	v_mul_f64_e32 v[4:5], v[74:75], v[152:153]
	;; [unrolled: 1-line block ×9, first 2 shown]
	s_mov_b32 s2, 0xe8584caa
	s_mov_b32 s3, 0xbfebb67a
	;; [unrolled: 1-line block ×3, first 2 shown]
	s_wait_alu 0xfffe
	s_mov_b32 s8, s2
	global_wb scope:SCOPE_SE
	s_wait_storecnt 0x0
	s_barrier_signal -1
	s_barrier_wait -1
	global_inv scope:SCOPE_SE
	v_fma_f64 v[0:1], v[64:65], v[166:167], -v[0:1]
	v_fma_f64 v[2:3], v[68:69], v[170:171], -v[2:3]
	;; [unrolled: 1-line block ×3, first 2 shown]
	v_fma_f64 v[6:7], v[64:65], v[164:165], v[6:7]
	v_fma_f64 v[8:9], v[68:69], v[168:169], v[8:9]
	;; [unrolled: 1-line block ×4, first 2 shown]
	v_fma_f64 v[14:15], v[80:81], v[158:159], -v[14:15]
	v_fma_f64 v[16:17], v[76:77], v[160:161], v[16:17]
	v_fma_f64 v[18:19], v[76:77], v[162:163], -v[18:19]
	v_add_f64_e32 v[20:21], v[0:1], v[2:3]
	v_add_f64_e64 v[30:31], v[0:1], -v[2:3]
	v_add_f64_e32 v[0:1], v[4:5], v[0:1]
	v_add_f64_e32 v[22:23], v[6:7], v[8:9]
	v_add_f64_e64 v[24:25], v[6:7], -v[8:9]
	v_add_f64_e32 v[6:7], v[10:11], v[6:7]
	v_add_f64_e32 v[26:27], v[12:13], v[16:17]
	;; [unrolled: 1-line block ×3, first 2 shown]
	v_add_f64_e64 v[34:35], v[14:15], -v[18:19]
	v_add_f64_e32 v[14:15], v[150:151], v[14:15]
	v_fma_f64 v[20:21], v[20:21], -0.5, v[4:5]
	v_add_f64_e32 v[0:1], v[0:1], v[2:3]
	v_fma_f64 v[22:23], v[22:23], -0.5, v[10:11]
	;; [unrolled: 2-line block ×3, first 2 shown]
	v_fma_f64 v[10:11], v[28:29], -0.5, v[150:151]
	v_add_f64_e32 v[14:15], v[14:15], v[18:19]
	s_wait_alu 0xfffe
	v_fma_f64 v[32:33], v[24:25], s[8:9], v[20:21]
	v_fma_f64 v[20:21], v[24:25], s[2:3], v[20:21]
	v_add_f64_e32 v[24:25], v[148:149], v[12:13]
	v_add_f64_e64 v[12:13], v[12:13], -v[16:17]
	v_fma_f64 v[26:27], v[30:31], s[2:3], v[22:23]
	v_fma_f64 v[22:23], v[30:31], s[8:9], v[22:23]
	;; [unrolled: 1-line block ×4, first 2 shown]
	v_add_f64_e32 v[66:67], v[14:15], v[0:1]
	v_add_f64_e64 v[70:71], v[14:15], -v[0:1]
	v_mul_f64_e32 v[28:29], s[2:3], v[32:33]
	v_mul_f64_e32 v[32:33], 0.5, v[32:33]
	v_mul_f64_e32 v[30:31], s[2:3], v[20:21]
	v_mul_f64_e32 v[20:21], -0.5, v[20:21]
	v_add_f64_e32 v[16:17], v[24:25], v[16:17]
	v_fma_f64 v[8:9], v[12:13], s[8:9], v[10:11]
	v_fma_f64 v[10:11], v[12:13], s[2:3], v[10:11]
	v_fma_f64 v[12:13], v[26:27], 0.5, v[28:29]
	v_fma_f64 v[24:25], v[26:27], s[8:9], v[32:33]
	v_fma_f64 v[18:19], v[22:23], -0.5, v[30:31]
	v_fma_f64 v[20:21], v[22:23], s[8:9], v[20:21]
	v_add_f64_e32 v[64:65], v[16:17], v[6:7]
	v_add_f64_e64 v[68:69], v[16:17], -v[6:7]
	v_add_f64_e32 v[72:73], v[2:3], v[12:13]
	v_add_f64_e32 v[74:75], v[8:9], v[24:25]
	;; [unrolled: 1-line block ×4, first 2 shown]
	v_add_f64_e64 v[80:81], v[2:3], -v[12:13]
	v_add_f64_e64 v[82:83], v[8:9], -v[24:25]
	;; [unrolled: 1-line block ×4, first 2 shown]
	ds_store_b128 v178, v[64:67]
	ds_store_b128 v178, v[72:75] offset:176
	ds_store_b128 v178, v[76:79] offset:352
	;; [unrolled: 1-line block ×5, first 2 shown]
	s_and_saveexec_b32 s10, vcc_lo
	s_cbranch_execz .LBB0_9
; %bb.8:
	s_clause 0x3
	scratch_load_b128 v[20:23], off, off offset:208 th:TH_LOAD_LU
	scratch_load_b128 v[34:37], off, off th:TH_LOAD_LU
	scratch_load_b128 v[30:33], off, off offset:256 th:TH_LOAD_LU
	scratch_load_b128 v[26:29], off, off offset:240 th:TH_LOAD_LU
	s_wait_loadcnt 0x3
	v_mul_f64_e32 v[0:1], v[22:23], v[140:141]
	v_mul_f64_e32 v[4:5], v[22:23], v[142:143]
	scratch_load_b128 v[22:25], off, off offset:224 th:TH_LOAD_LU ; 16-byte Folded Reload
	s_wait_loadcnt 0x3
	v_mul_f64_e32 v[2:3], v[62:63], v[34:35]
	s_wait_loadcnt 0x2
	v_mul_f64_e32 v[10:11], v[32:33], v[136:137]
	v_mul_f64_e32 v[6:7], v[62:63], v[36:37]
	v_mul_f64_e32 v[14:15], v[32:33], v[138:139]
	s_wait_loadcnt 0x1
	v_mul_f64_e32 v[12:13], v[28:29], v[144:145]
	v_mul_f64_e32 v[16:17], v[28:29], v[146:147]
	v_fma_f64 v[0:1], v[20:21], v[142:143], -v[0:1]
	v_fma_f64 v[4:5], v[20:21], v[140:141], v[4:5]
	v_fma_f64 v[2:3], v[60:61], v[36:37], -v[2:3]
	v_fma_f64 v[10:11], v[30:31], v[138:139], -v[10:11]
	v_fma_f64 v[6:7], v[60:61], v[34:35], v[6:7]
	v_fma_f64 v[14:15], v[30:31], v[136:137], v[14:15]
	v_fma_f64 v[12:13], v[26:27], v[146:147], -v[12:13]
	v_fma_f64 v[16:17], v[26:27], v[144:145], v[16:17]
	v_add_f64_e32 v[20:21], v[0:1], v[2:3]
	v_add_f64_e64 v[28:29], v[0:1], -v[2:3]
	v_add_f64_e32 v[34:35], v[130:131], v[10:11]
	v_add_f64_e32 v[26:27], v[10:11], v[12:13]
	;; [unrolled: 1-line block ×3, first 2 shown]
	s_wait_loadcnt 0x0
	v_mul_f64_e32 v[8:9], v[24:25], v[132:133]
	v_mul_f64_e32 v[18:19], v[24:25], v[134:135]
	v_add_f64_e64 v[24:25], v[4:5], -v[6:7]
	s_delay_alu instid0(VALU_DEP_3) | instskip(NEXT) | instid1(VALU_DEP_3)
	v_fma_f64 v[8:9], v[22:23], v[134:135], -v[8:9]
	v_fma_f64 v[18:19], v[22:23], v[132:133], v[18:19]
	v_add_f64_e32 v[22:23], v[4:5], v[6:7]
	s_delay_alu instid0(VALU_DEP_3)
	v_add_f64_e32 v[0:1], v[8:9], v[0:1]
	v_fma_f64 v[20:21], v[20:21], -0.5, v[8:9]
	v_add_f64_e64 v[8:9], v[10:11], -v[12:13]
	v_add_f64_e32 v[12:13], v[34:35], v[12:13]
	v_fma_f64 v[22:23], v[22:23], -0.5, v[18:19]
	v_add_f64_e32 v[10:11], v[128:129], v[14:15]
	v_add_f64_e32 v[4:5], v[18:19], v[4:5]
	v_fma_f64 v[18:19], v[30:31], -0.5, v[128:129]
	v_add_f64_e32 v[0:1], v[0:1], v[2:3]
	v_fma_f64 v[32:33], v[24:25], s[2:3], v[20:21]
	v_fma_f64 v[20:21], v[24:25], s[8:9], v[20:21]
	v_add_f64_e64 v[24:25], v[14:15], -v[16:17]
	v_fma_f64 v[14:15], v[26:27], -0.5, v[130:131]
	v_fma_f64 v[26:27], v[28:29], s[8:9], v[22:23]
	v_fma_f64 v[22:23], v[28:29], s[2:3], v[22:23]
	v_add_f64_e32 v[2:3], v[10:11], v[16:17]
	v_add_f64_e32 v[4:5], v[4:5], v[6:7]
	v_add_f64_e64 v[46:47], v[12:13], -v[0:1]
	v_add_f64_e32 v[50:51], v[12:13], v[0:1]
	s_clause 0x1
	scratch_load_b32 v0, off, off offset:204 th:TH_LOAD_LU
	scratch_load_b32 v1, off, off offset:200 th:TH_LOAD_LU
	v_mul_f64_e32 v[28:29], 0.5, v[20:21]
	v_mul_f64_e32 v[20:21], s[2:3], v[20:21]
	v_mul_f64_e32 v[30:31], -0.5, v[32:33]
	v_mul_f64_e32 v[32:33], s[2:3], v[32:33]
	v_fma_f64 v[6:7], v[24:25], s[2:3], v[14:15]
	v_fma_f64 v[10:11], v[24:25], s[8:9], v[14:15]
	;; [unrolled: 1-line block ×4, first 2 shown]
	v_add_f64_e32 v[48:49], v[2:3], v[4:5]
	v_add_f64_e64 v[44:45], v[2:3], -v[4:5]
	v_fma_f64 v[18:19], v[22:23], s[8:9], v[28:29]
	v_fma_f64 v[20:21], v[22:23], 0.5, v[20:21]
	v_fma_f64 v[16:17], v[26:27], s[8:9], v[30:31]
	v_fma_f64 v[22:23], v[26:27], -0.5, v[32:33]
	s_delay_alu instid0(VALU_DEP_4) | instskip(NEXT) | instid1(VALU_DEP_4)
	v_add_f64_e32 v[62:63], v[10:11], v[18:19]
	v_add_f64_e32 v[60:61], v[8:9], v[20:21]
	s_delay_alu instid0(VALU_DEP_4) | instskip(NEXT) | instid1(VALU_DEP_4)
	v_add_f64_e32 v[58:59], v[6:7], v[16:17]
	v_add_f64_e32 v[56:57], v[14:15], v[22:23]
	v_add_f64_e64 v[66:67], v[10:11], -v[18:19]
	v_add_f64_e64 v[64:65], v[8:9], -v[20:21]
	;; [unrolled: 1-line block ×4, first 2 shown]
	s_wait_loadcnt 0x1
	v_mul_u32_u24_e32 v0, 0x42, v0
	s_wait_loadcnt 0x0
	s_delay_alu instid0(VALU_DEP_1) | instskip(NEXT) | instid1(VALU_DEP_1)
	v_add_nc_u32_e32 v0, v0, v1
	v_lshl_add_u32 v0, v0, 4, v175
	ds_store_b128 v0, v[48:51]
	ds_store_b128 v0, v[60:63] offset:176
	ds_store_b128 v0, v[56:59] offset:352
	;; [unrolled: 1-line block ×5, first 2 shown]
.LBB0_9:
	s_wait_alu 0xfffe
	s_or_b32 exec_lo, exec_lo, s10
	global_wb scope:SCOPE_SE
	s_wait_dscnt 0x0
	s_barrier_signal -1
	s_barrier_wait -1
	global_inv scope:SCOPE_SE
	ds_load_b128 v[44:47], v174 offset:1056
	ds_load_b128 v[52:55], v174 offset:10560
	;; [unrolled: 1-line block ×9, first 2 shown]
	s_mov_b32 s2, 0xf8bb580b
	s_mov_b32 s8, 0x8764f0ba
	;; [unrolled: 1-line block ×15, first 2 shown]
	s_wait_dscnt 0x7
	v_mul_f64_e32 v[4:5], v[86:87], v[52:53]
	s_wait_dscnt 0x6
	v_mul_f64_e32 v[6:7], v[94:95], v[56:57]
	v_mul_f64_e32 v[0:1], v[90:91], v[46:47]
	;; [unrolled: 1-line block ×3, first 2 shown]
	s_wait_dscnt 0x5
	v_mul_f64_e32 v[8:9], v[98:99], v[60:61]
	v_mul_f64_e32 v[10:11], v[94:95], v[58:59]
	s_wait_dscnt 0x4
	v_mul_f64_e32 v[12:13], v[110:111], v[64:65]
	s_wait_dscnt 0x3
	v_mul_f64_e32 v[14:15], v[118:119], v[68:69]
	v_mul_f64_e32 v[18:19], v[110:111], v[66:67]
	v_mul_f64_e32 v[20:21], v[98:99], v[62:63]
	s_wait_dscnt 0x2
	v_mul_f64_e32 v[26:27], v[106:107], v[72:73]
	s_wait_dscnt 0x0
	v_mul_f64_e32 v[28:29], v[114:115], v[82:83]
	v_mul_f64_e32 v[34:35], v[126:127], v[76:77]
	;; [unrolled: 1-line block ×7, first 2 shown]
	s_mov_b32 s27, 0xbfe4f49e
	s_mov_b32 s30, 0xfd768dbf
	;; [unrolled: 1-line block ×7, first 2 shown]
	s_wait_alu 0xfffe
	s_mov_b32 s10, s2
	s_mov_b32 s16, s12
	;; [unrolled: 1-line block ×8, first 2 shown]
	v_fma_f64 v[48:49], v[84:85], v[54:55], -v[4:5]
	v_fma_f64 v[4:5], v[92:93], v[58:59], -v[6:7]
	v_fma_f64 v[0:1], v[88:89], v[44:45], v[0:1]
	v_fma_f64 v[2:3], v[88:89], v[46:47], -v[2:3]
	ds_load_b128 v[88:91], v174 offset:6336
	ds_load_b128 v[44:47], v174
	v_fma_f64 v[50:51], v[96:97], v[62:63], -v[8:9]
	v_fma_f64 v[6:7], v[92:93], v[56:57], v[10:11]
	v_fma_f64 v[12:13], v[108:109], v[66:67], -v[12:13]
	v_fma_f64 v[56:57], v[116:117], v[70:71], -v[14:15]
	v_fma_f64 v[14:15], v[108:109], v[64:65], v[18:19]
	v_fma_f64 v[54:55], v[96:97], v[60:61], v[20:21]
	v_fma_f64 v[18:19], v[104:105], v[74:75], -v[26:27]
	v_fma_f64 v[20:21], v[112:113], v[80:81], v[28:29]
	v_fma_f64 v[26:27], v[124:125], v[78:79], -v[34:35]
	v_fma_f64 v[52:53], v[84:85], v[52:53], v[16:17]
	v_fma_f64 v[16:17], v[104:105], v[72:73], v[22:23]
	;; [unrolled: 1-line block ×3, first 2 shown]
	v_fma_f64 v[22:23], v[112:113], v[82:83], -v[30:31]
	v_fma_f64 v[24:25], v[124:125], v[76:77], v[32:33]
	s_wait_dscnt 0x1
	v_mul_f64_e32 v[36:37], v[122:123], v[90:91]
	v_mul_f64_e32 v[38:39], v[122:123], v[88:89]
	s_wait_dscnt 0x0
	v_add_f64_e32 v[8:9], v[44:45], v[0:1]
	v_add_f64_e32 v[10:11], v[46:47], v[2:3]
	v_add_f64_e64 v[32:33], v[2:3], -v[48:49]
	v_add_f64_e32 v[2:3], v[2:3], v[48:49]
	v_add_f64_e64 v[34:35], v[4:5], -v[50:51]
	v_add_f64_e32 v[42:43], v[6:7], v[54:55]
	v_add_f64_e32 v[40:41], v[0:1], v[52:53]
	v_add_f64_e64 v[0:1], v[0:1], -v[52:53]
	v_add_f64_e32 v[64:65], v[16:17], v[20:21]
	v_add_f64_e32 v[66:67], v[18:19], v[22:23]
	v_add_f64_e64 v[68:69], v[18:19], -v[22:23]
	v_add_f64_e64 v[70:71], v[16:17], -v[20:21]
	v_add_f64_e32 v[60:61], v[14:15], v[58:59]
	v_add_f64_e64 v[62:63], v[14:15], -v[58:59]
	v_fma_f64 v[28:29], v[120:121], v[88:89], v[36:37]
	v_add_f64_e32 v[36:37], v[4:5], v[50:51]
	v_fma_f64 v[30:31], v[120:121], v[90:91], -v[38:39]
	v_add_f64_e32 v[38:39], v[12:13], v[56:57]
	v_add_f64_e32 v[8:9], v[8:9], v[6:7]
	;; [unrolled: 1-line block ×3, first 2 shown]
	v_mul_f64_e32 v[80:81], s[2:3], v[32:33]
	v_mul_f64_e32 v[82:83], s[8:9], v[2:3]
	;; [unrolled: 1-line block ×10, first 2 shown]
	v_add_f64_e64 v[10:11], v[12:13], -v[56:57]
	v_add_f64_e64 v[6:7], v[6:7], -v[54:55]
	v_mul_f64_e32 v[96:97], s[12:13], v[34:35]
	v_mul_f64_e32 v[100:101], s[24:25], v[34:35]
	s_wait_alu 0xfffe
	v_mul_f64_e32 v[104:105], s[22:23], v[34:35]
	v_mul_f64_e32 v[124:125], s[24:25], v[68:69]
	v_mul_f64_e32 v[128:129], s[22:23], v[68:69]
	v_mul_f64_e32 v[130:131], s[20:21], v[66:67]
	v_mul_f64_e32 v[132:133], s[2:3], v[68:69]
	v_mul_f64_e32 v[134:135], s[8:9], v[66:67]
	v_add_f64_e32 v[72:73], v[24:25], v[28:29]
	v_mul_f64_e32 v[98:99], s[14:15], v[36:37]
	v_add_f64_e32 v[74:75], v[26:27], v[30:31]
	v_mul_f64_e32 v[102:103], s[34:35], v[36:37]
	v_mul_f64_e32 v[106:107], s[20:21], v[36:37]
	;; [unrolled: 1-line block ×6, first 2 shown]
	v_add_f64_e64 v[76:77], v[24:25], -v[28:29]
	v_add_f64_e64 v[78:79], v[26:27], -v[30:31]
	v_mul_f64_e32 v[38:39], s[26:27], v[38:39]
	v_mul_f64_e32 v[136:137], s[30:31], v[68:69]
	;; [unrolled: 1-line block ×5, first 2 shown]
	v_add_f64_e32 v[8:9], v[8:9], v[14:15]
	v_add_f64_e32 v[4:5], v[4:5], v[12:13]
	v_mul_f64_e32 v[12:13], s[26:27], v[36:37]
	v_mul_f64_e32 v[14:15], s[36:37], v[34:35]
	v_fma_f64 v[156:157], v[40:41], s[14:15], v[84:85]
	v_fma_f64 v[158:159], v[0:1], s[16:17], v[86:87]
	v_fma_f64 v[84:85], v[40:41], s[14:15], -v[84:85]
	v_fma_f64 v[160:161], v[40:41], s[20:21], v[88:89]
	v_fma_f64 v[162:163], v[0:1], s[22:23], v[90:91]
	v_fma_f64 v[88:89], v[40:41], s[20:21], -v[88:89]
	v_fma_f64 v[164:165], v[40:41], s[26:27], v[92:93]
	v_fma_f64 v[166:167], v[0:1], s[28:29], v[94:95]
	v_mul_f64_e32 v[34:35], s[10:11], v[34:35]
	v_mul_f64_e32 v[36:37], s[8:9], v[36:37]
	v_fma_f64 v[92:93], v[40:41], s[26:27], -v[92:93]
	v_fma_f64 v[168:169], v[40:41], s[34:35], v[32:33]
	v_fma_f64 v[170:171], v[0:1], s[36:37], v[2:3]
	;; [unrolled: 1-line block ×5, first 2 shown]
	v_fma_f64 v[32:33], v[40:41], s[34:35], -v[32:33]
	v_mul_f64_e32 v[108:109], s[18:19], v[10:11]
	v_mul_f64_e32 v[112:113], s[36:37], v[10:11]
	v_fma_f64 v[172:173], v[42:43], s[26:27], v[100:101]
	v_mul_f64_e32 v[142:143], s[34:35], v[74:75]
	v_mul_f64_e32 v[146:147], s[8:9], v[74:75]
	;; [unrolled: 1-line block ×5, first 2 shown]
	v_fma_f64 v[100:101], v[42:43], s[26:27], -v[100:101]
	v_fma_f64 v[179:180], v[6:7], s[30:31], v[102:103]
	v_mul_f64_e32 v[120:121], s[2:3], v[10:11]
	v_fma_f64 v[181:182], v[42:43], s[20:21], v[104:105]
	v_fma_f64 v[183:184], v[6:7], s[18:19], v[106:107]
	v_mul_f64_e32 v[10:11], s[24:25], v[10:11]
	v_fma_f64 v[104:105], v[42:43], s[20:21], -v[104:105]
	v_fma_f64 v[102:103], v[6:7], s[36:37], v[102:103]
	v_fma_f64 v[187:188], v[62:63], s[30:31], v[114:115]
	v_add_f64_e32 v[8:9], v[8:9], v[16:17]
	v_add_f64_e32 v[4:5], v[4:5], v[18:19]
	v_mul_f64_e32 v[16:17], s[20:21], v[74:75]
	v_fma_f64 v[18:19], v[40:41], s[8:9], v[80:81]
	v_fma_f64 v[74:75], v[0:1], s[10:11], v[82:83]
	v_fma_f64 v[80:81], v[40:41], s[8:9], -v[80:81]
	v_fma_f64 v[82:83], v[0:1], s[2:3], v[82:83]
	v_fma_f64 v[0:1], v[0:1], s[30:31], v[2:3]
	;; [unrolled: 1-line block ×4, first 2 shown]
	v_fma_f64 v[96:97], v[42:43], s[14:15], -v[96:97]
	v_fma_f64 v[98:99], v[6:7], s[12:13], v[98:99]
	v_fma_f64 v[175:176], v[6:7], s[28:29], v[12:13]
	v_add_f64_e32 v[156:157], v[44:45], v[156:157]
	v_add_f64_e32 v[158:159], v[46:47], v[158:159]
	v_fma_f64 v[177:178], v[42:43], s[34:35], v[14:15]
	v_add_f64_e32 v[84:85], v[44:45], v[84:85]
	v_add_f64_e32 v[160:161], v[44:45], v[160:161]
	;; [unrolled: 1-line block ×3, first 2 shown]
	v_fma_f64 v[14:15], v[42:43], s[34:35], -v[14:15]
	v_add_f64_e32 v[88:89], v[44:45], v[88:89]
	v_add_f64_e32 v[164:165], v[44:45], v[164:165]
	;; [unrolled: 1-line block ×6, first 2 shown]
	v_fma_f64 v[12:13], v[6:7], s[24:25], v[12:13]
	v_add_f64_e32 v[32:33], v[44:45], v[32:33]
	v_add_f64_e32 v[90:91], v[46:47], v[90:91]
	;; [unrolled: 1-line block ×3, first 2 shown]
	v_fma_f64 v[185:186], v[60:61], s[34:35], v[112:113]
	v_fma_f64 v[189:190], v[60:61], s[14:15], v[116:117]
	;; [unrolled: 1-line block ×3, first 2 shown]
	v_fma_f64 v[112:113], v[60:61], s[34:35], -v[112:113]
	v_fma_f64 v[116:117], v[60:61], s[14:15], -v[116:117]
	v_mul_f64_e32 v[66:67], s[14:15], v[66:67]
	v_fma_f64 v[118:119], v[62:63], s[16:17], v[118:119]
	v_fma_f64 v[114:115], v[62:63], s[36:37], v[114:115]
	v_add_f64_e32 v[8:9], v[8:9], v[24:25]
	v_add_f64_e32 v[4:5], v[4:5], v[26:27]
	v_fma_f64 v[24:25], v[6:7], s[22:23], v[106:107]
	v_add_f64_e32 v[18:19], v[44:45], v[18:19]
	v_fma_f64 v[26:27], v[42:43], s[8:9], v[34:35]
	v_add_f64_e32 v[80:81], v[44:45], v[80:81]
	v_add_f64_e32 v[82:83], v[46:47], v[82:83]
	v_fma_f64 v[106:107], v[6:7], s[2:3], v[36:37]
	v_fma_f64 v[34:35], v[42:43], s[8:9], -v[34:35]
	v_fma_f64 v[6:7], v[6:7], s[10:11], v[36:37]
	v_add_f64_e32 v[0:1], v[46:47], v[0:1]
	v_add_f64_e32 v[44:45], v[46:47], v[94:95]
	v_fma_f64 v[36:37], v[60:61], s[20:21], v[108:109]
	v_fma_f64 v[42:43], v[62:63], s[22:23], v[110:111]
	;; [unrolled: 1-line block ×4, first 2 shown]
	v_add_f64_e32 v[84:85], v[100:101], v[84:85]
	v_fma_f64 v[108:109], v[60:61], s[20:21], -v[108:109]
	v_add_f64_e32 v[100:101], v[179:180], v[162:163]
	v_mul_f64_e32 v[144:145], s[10:11], v[78:79]
	v_add_f64_e32 v[14:15], v[14:15], v[88:89]
	v_add_f64_e32 v[88:89], v[181:182], v[164:165]
	v_fma_f64 v[193:194], v[64:65], s[20:21], v[128:129]
	v_add_f64_e32 v[92:93], v[104:105], v[92:93]
	v_fma_f64 v[195:196], v[70:71], s[18:19], v[130:131]
	v_mul_f64_e32 v[140:141], s[30:31], v[78:79]
	v_mul_f64_e32 v[148:149], s[24:25], v[78:79]
	;; [unrolled: 1-line block ×3, first 2 shown]
	v_fma_f64 v[128:129], v[64:65], s[20:21], -v[128:129]
	v_add_f64_e32 v[12:13], v[12:13], v[86:87]
	v_fma_f64 v[86:87], v[70:71], s[36:37], v[138:139]
	v_mul_f64_e32 v[78:79], s[18:19], v[78:79]
	v_fma_f64 v[130:131], v[70:71], s[22:23], v[130:131]
	v_add_f64_e32 v[8:9], v[8:9], v[28:29]
	v_add_f64_e32 v[4:5], v[4:5], v[30:31]
	;; [unrolled: 1-line block ×4, first 2 shown]
	v_fma_f64 v[30:31], v[60:61], s[8:9], v[120:121]
	v_add_f64_e32 v[18:19], v[96:97], v[80:81]
	v_add_f64_e32 v[80:81], v[98:99], v[82:83]
	;; [unrolled: 1-line block ×5, first 2 shown]
	v_fma_f64 v[46:47], v[62:63], s[10:11], v[122:123]
	v_add_f64_e32 v[156:157], v[183:184], v[166:167]
	v_fma_f64 v[74:75], v[60:61], s[8:9], -v[120:121]
	v_fma_f64 v[120:121], v[60:61], s[26:27], v[10:11]
	v_fma_f64 v[122:123], v[62:63], s[28:29], v[38:39]
	v_add_f64_e32 v[26:27], v[26:27], v[168:169]
	v_add_f64_e32 v[104:105], v[106:107], v[170:171]
	v_fma_f64 v[10:11], v[60:61], s[26:27], -v[10:11]
	v_fma_f64 v[38:39], v[62:63], s[24:25], v[38:39]
	v_add_f64_e32 v[32:33], v[34:35], v[32:33]
	v_add_f64_e32 v[0:1], v[6:7], v[0:1]
	;; [unrolled: 1-line block ×4, first 2 shown]
	v_fma_f64 v[60:61], v[64:65], s[26:27], v[124:125]
	v_fma_f64 v[34:35], v[64:65], s[8:9], -v[132:133]
	v_fma_f64 v[44:45], v[64:65], s[34:35], v[136:137]
	v_add_f64_e32 v[84:85], v[112:113], v[84:85]
	v_add_f64_e32 v[14:15], v[116:117], v[14:15]
	v_fma_f64 v[106:107], v[64:65], s[14:15], v[68:69]
	v_fma_f64 v[124:125], v[64:65], s[26:27], -v[124:125]
	v_fma_f64 v[90:91], v[64:65], s[34:35], -v[136:137]
	v_fma_f64 v[102:103], v[70:71], s[30:31], v[138:139]
	v_add_f64_e32 v[12:13], v[114:115], v[12:13]
	v_fma_f64 v[62:63], v[70:71], s[28:29], v[126:127]
	v_fma_f64 v[126:127], v[70:71], s[24:25], v[126:127]
	;; [unrolled: 1-line block ×5, first 2 shown]
	v_add_f64_e32 v[8:9], v[8:9], v[20:21]
	v_add_f64_e32 v[4:5], v[4:5], v[22:23]
	;; [unrolled: 1-line block ×4, first 2 shown]
	v_fma_f64 v[22:23], v[64:65], s[8:9], v[132:133]
	v_fma_f64 v[28:29], v[70:71], s[10:11], v[134:135]
	v_add_f64_e32 v[36:37], v[110:111], v[80:81]
	v_add_f64_e32 v[80:81], v[185:186], v[82:83]
	;; [unrolled: 1-line block ×7, first 2 shown]
	v_fma_f64 v[132:133], v[70:71], s[12:13], v[66:67]
	v_fma_f64 v[64:65], v[64:65], s[14:15], -v[68:69]
	v_add_f64_e32 v[26:27], v[120:121], v[26:27]
	v_add_f64_e32 v[88:89], v[122:123], v[104:105]
	v_fma_f64 v[66:67], v[70:71], s[16:17], v[66:67]
	v_add_f64_e32 v[74:75], v[74:75], v[92:93]
	v_add_f64_e32 v[10:11], v[10:11], v[32:33]
	;; [unrolled: 1-line block ×4, first 2 shown]
	v_fma_f64 v[40:41], v[70:71], s[2:3], v[134:135]
	v_add_f64_e32 v[18:19], v[108:109], v[18:19]
	v_add_f64_e32 v[24:25], v[118:119], v[24:25]
	v_fma_f64 v[32:33], v[72:73], s[8:9], v[144:145]
	v_fma_f64 v[38:39], v[76:77], s[2:3], v[146:147]
	;; [unrolled: 1-line block ×11, first 2 shown]
	v_add_f64_e32 v[76:77], v[128:129], v[84:85]
	v_add_f64_e32 v[14:15], v[34:35], v[14:15]
	v_add_f64_e32 v[8:9], v[8:9], v[58:59]
	v_add_f64_e32 v[4:5], v[4:5], v[56:57]
	v_add_f64_e32 v[20:21], v[42:43], v[20:21]
	v_add_f64_e32 v[2:3], v[60:61], v[2:3]
	v_fma_f64 v[42:43], v[72:73], s[8:9], -v[144:145]
	v_fma_f64 v[118:119], v[72:73], s[20:21], v[78:79]
	v_fma_f64 v[70:71], v[72:73], s[34:35], -v[140:141]
	v_add_f64_e32 v[58:59], v[193:194], v[80:81]
	v_add_f64_e32 v[60:61], v[195:196], v[82:83]
	v_add_f64_e32 v[22:23], v[22:23], v[96:97]
	v_add_f64_e32 v[28:29], v[28:29], v[98:99]
	v_add_f64_e32 v[30:31], v[44:45], v[30:31]
	v_add_f64_e32 v[34:35], v[86:87], v[46:47]
	v_fma_f64 v[104:105], v[72:73], s[26:27], -v[148:149]
	v_fma_f64 v[114:115], v[72:73], s[14:15], -v[152:153]
	v_add_f64_e32 v[26:27], v[106:107], v[26:27]
	v_add_f64_e32 v[80:81], v[132:133], v[88:89]
	v_fma_f64 v[72:73], v[72:73], s[20:21], -v[78:79]
	v_add_f64_e32 v[46:47], v[90:91], v[74:75]
	v_add_f64_e32 v[10:11], v[64:65], v[10:11]
	v_add_f64_e32 v[0:1], v[66:67], v[0:1]
	v_add_f64_e32 v[6:7], v[102:103], v[6:7]
	v_add_f64_e32 v[12:13], v[130:131], v[12:13]
	v_add_f64_e32 v[18:19], v[124:125], v[18:19]
	v_add_f64_e32 v[24:25], v[40:41], v[24:25]
	v_add_f64_e32 v[36:37], v[126:127], v[36:37]
	s_mov_b32 s2, 0x3a88d0c0
	s_mov_b32 s3, 0x3f569147
	v_add_f64_e32 v[8:9], v[8:9], v[54:55]
	v_add_f64_e32 v[4:5], v[4:5], v[50:51]
	;; [unrolled: 1-line block ×5, first 2 shown]
	v_mad_co_u64_u32 v[2:3], null, s4, v255, 0
	v_add_f64_e32 v[58:59], v[32:33], v[58:59]
	v_add_f64_e32 v[60:61], v[38:39], v[60:61]
	v_add_f64_e32 v[66:67], v[94:95], v[22:23]
	v_add_f64_e32 v[68:69], v[100:101], v[28:29]
	v_add_f64_e32 v[74:75], v[110:111], v[30:31]
	v_add_f64_e32 v[76:77], v[112:113], v[34:35]
	v_add_f64_e32 v[82:83], v[118:119], v[26:27]
	v_add_f64_e32 v[84:85], v[120:121], v[80:81]
	v_add_f64_e32 v[78:79], v[114:115], v[46:47]
	v_add_f64_e32 v[86:87], v[72:73], v[10:11]
	v_add_f64_e32 v[88:89], v[16:17], v[0:1]
	v_add_f64_e32 v[80:81], v[116:117], v[6:7]
	v_add_f64_e32 v[64:65], v[92:93], v[12:13]
	v_add_f64_e32 v[54:55], v[70:71], v[18:19]
	v_add_f64_e32 v[70:71], v[104:105], v[14:15]
	v_add_f64_e32 v[72:73], v[108:109], v[24:25]
	v_add_f64_e32 v[56:57], v[136:137], v[36:37]
	scratch_load_b64 v[0:1], off, off offset:128 th:TH_LOAD_LU ; 8-byte Folded Reload
	v_add_f64_e32 v[50:51], v[8:9], v[52:53]
	v_add_f64_e32 v[52:53], v[4:5], v[48:49]
	;; [unrolled: 1-line block ×3, first 2 shown]
	ds_store_b128 v174, v[58:61] offset:2112
	ds_store_b128 v174, v[66:69] offset:3168
	;; [unrolled: 1-line block ×9, first 2 shown]
	ds_store_b128 v174, v[50:53]
	ds_store_b128 v174, v[44:47] offset:1056
	global_wb scope:SCOPE_SE
	s_wait_loadcnt_dscnt 0x0
	s_barrier_signal -1
	s_barrier_wait -1
	global_inv scope:SCOPE_SE
	ds_load_b128 v[44:47], v174
	ds_load_b128 v[48:51], v174 offset:1056
	ds_load_b128 v[52:55], v174 offset:2112
	;; [unrolled: 1-line block ×10, first 2 shown]
	s_clause 0x1
	scratch_load_b128 v[96:99], off, off offset:16 th:TH_LOAD_LU
	scratch_load_b128 v[116:119], off, off offset:168 th:TH_LOAD_LU
	v_mov_b32_e32 v4, v0
	s_delay_alu instid0(VALU_DEP_1) | instskip(NEXT) | instid1(VALU_DEP_1)
	v_mad_co_u64_u32 v[0:1], null, s6, v4, 0
	v_mad_co_u64_u32 v[4:5], null, s7, v4, v[1:2]
	s_delay_alu instid0(VALU_DEP_1) | instskip(SKIP_1) | instid1(VALU_DEP_1)
	v_mad_co_u64_u32 v[5:6], null, s5, v255, v[3:4]
	v_mov_b32_e32 v1, v4
	v_lshlrev_b64_e32 v[0:1], 4, v[0:1]
	s_delay_alu instid0(VALU_DEP_3) | instskip(NEXT) | instid1(VALU_DEP_1)
	v_mov_b32_e32 v3, v5
	v_lshlrev_b64_e32 v[2:3], 4, v[2:3]
	s_delay_alu instid0(VALU_DEP_3) | instskip(SKIP_1) | instid1(VALU_DEP_4)
	v_add_co_u32 v0, vcc_lo, s0, v0
	s_wait_alu 0xfffd
	v_add_co_ci_u32_e32 v1, vcc_lo, s1, v1, vcc_lo
	s_mul_u64 s[0:1], s[4:5], 0x420
	s_delay_alu instid0(VALU_DEP_2) | instskip(SKIP_1) | instid1(VALU_DEP_2)
	v_add_co_u32 v92, vcc_lo, v0, v2
	s_wait_alu 0xfffd
	v_add_co_ci_u32_e32 v93, vcc_lo, v1, v3, vcc_lo
	s_wait_alu 0xfffe
	s_delay_alu instid0(VALU_DEP_2) | instskip(SKIP_1) | instid1(VALU_DEP_2)
	v_add_co_u32 v94, vcc_lo, v92, s0
	s_wait_alu 0xfffd
	v_add_co_ci_u32_e32 v95, vcc_lo, s1, v93, vcc_lo
	s_wait_loadcnt_dscnt 0x10a
	v_mul_f64_e32 v[4:5], v[98:99], v[46:47]
	v_mul_f64_e32 v[6:7], v[98:99], v[44:45]
	scratch_load_b128 v[98:101], off, off offset:32 th:TH_LOAD_LU ; 16-byte Folded Reload
	s_wait_loadcnt_dscnt 0x102
	v_mul_f64_e32 v[36:37], v[118:119], v[78:79]
	v_mul_f64_e32 v[38:39], v[118:119], v[76:77]
	scratch_load_b128 v[118:121], off, off offset:184 th:TH_LOAD_LU ; 16-byte Folded Reload
	v_fma_f64 v[0:1], v[96:97], v[44:45], v[4:5]
	v_fma_f64 v[2:3], v[96:97], v[46:47], -v[6:7]
	v_add_co_u32 v44, vcc_lo, v94, s0
	s_wait_alu 0xfffd
	v_add_co_ci_u32_e32 v45, vcc_lo, s1, v95, vcc_lo
	s_delay_alu instid0(VALU_DEP_2) | instskip(SKIP_1) | instid1(VALU_DEP_2)
	v_add_co_u32 v46, vcc_lo, v44, s0
	s_wait_alu 0xfffd
	v_add_co_ci_u32_e32 v47, vcc_lo, s1, v45, vcc_lo
	v_mul_f64_e32 v[0:1], s[2:3], v[0:1]
	v_mul_f64_e32 v[2:3], s[2:3], v[2:3]
	s_wait_loadcnt 0x1
	v_mul_f64_e32 v[8:9], v[100:101], v[50:51]
	v_mul_f64_e32 v[10:11], v[100:101], v[48:49]
	scratch_load_b128 v[100:103], off, off offset:48 th:TH_LOAD_LU ; 16-byte Folded Reload
	s_wait_loadcnt_dscnt 0x100
	v_mul_f64_e32 v[88:89], v[120:121], v[86:87]
	v_mul_f64_e32 v[90:91], v[120:121], v[84:85]
	v_fma_f64 v[4:5], v[98:99], v[48:49], v[8:9]
	v_fma_f64 v[6:7], v[98:99], v[50:51], -v[10:11]
	v_add_co_u32 v48, vcc_lo, v46, s0
	s_wait_alu 0xfffd
	v_add_co_ci_u32_e32 v49, vcc_lo, s1, v47, vcc_lo
	s_delay_alu instid0(VALU_DEP_2) | instskip(SKIP_1) | instid1(VALU_DEP_2)
	v_add_co_u32 v50, vcc_lo, v48, s0
	s_wait_alu 0xfffd
	v_add_co_ci_u32_e32 v51, vcc_lo, s1, v49, vcc_lo
	v_mul_f64_e32 v[4:5], s[2:3], v[4:5]
	v_mul_f64_e32 v[6:7], s[2:3], v[6:7]
	s_wait_loadcnt 0x0
	v_mul_f64_e32 v[12:13], v[102:103], v[54:55]
	v_mul_f64_e32 v[14:15], v[102:103], v[52:53]
	scratch_load_b128 v[102:105], off, off offset:64 th:TH_LOAD_LU ; 16-byte Folded Reload
	v_fma_f64 v[8:9], v[100:101], v[52:53], v[12:13]
	v_fma_f64 v[10:11], v[100:101], v[54:55], -v[14:15]
	v_add_co_u32 v52, vcc_lo, v50, s0
	s_wait_alu 0xfffd
	v_add_co_ci_u32_e32 v53, vcc_lo, s1, v51, vcc_lo
	s_delay_alu instid0(VALU_DEP_2) | instskip(SKIP_1) | instid1(VALU_DEP_2)
	v_add_co_u32 v54, vcc_lo, v52, s0
	s_wait_alu 0xfffd
	v_add_co_ci_u32_e32 v55, vcc_lo, s1, v53, vcc_lo
	v_mul_f64_e32 v[8:9], s[2:3], v[8:9]
	v_mul_f64_e32 v[10:11], s[2:3], v[10:11]
	s_wait_loadcnt 0x0
	v_mul_f64_e32 v[16:17], v[104:105], v[58:59]
	v_mul_f64_e32 v[18:19], v[104:105], v[56:57]
	scratch_load_b128 v[104:107], off, off offset:80 th:TH_LOAD_LU ; 16-byte Folded Reload
	;; [unrolled: 15-line block ×3, first 2 shown]
	v_fma_f64 v[16:17], v[104:105], v[60:61], v[20:21]
	v_fma_f64 v[18:19], v[104:105], v[62:63], -v[22:23]
	v_add_co_u32 v60, vcc_lo, v58, s0
	s_wait_alu 0xfffd
	v_add_co_ci_u32_e32 v61, vcc_lo, s1, v59, vcc_lo
	s_delay_alu instid0(VALU_DEP_4) | instskip(NEXT) | instid1(VALU_DEP_4)
	v_mul_f64_e32 v[16:17], s[2:3], v[16:17]
	v_mul_f64_e32 v[18:19], s[2:3], v[18:19]
	s_wait_loadcnt 0x0
	v_mul_f64_e32 v[24:25], v[108:109], v[66:67]
	v_mul_f64_e32 v[26:27], v[108:109], v[64:65]
	scratch_load_b128 v[108:111], off, off offset:112 th:TH_LOAD_LU ; 16-byte Folded Reload
	v_fma_f64 v[20:21], v[106:107], v[64:65], v[24:25]
	v_fma_f64 v[22:23], v[106:107], v[66:67], -v[26:27]
	s_delay_alu instid0(VALU_DEP_2) | instskip(NEXT) | instid1(VALU_DEP_2)
	v_mul_f64_e32 v[20:21], s[2:3], v[20:21]
	v_mul_f64_e32 v[22:23], s[2:3], v[22:23]
	s_wait_loadcnt 0x0
	v_mul_f64_e32 v[28:29], v[110:111], v[70:71]
	v_mul_f64_e32 v[30:31], v[110:111], v[68:69]
	scratch_load_b128 v[110:113], off, off offset:136 th:TH_LOAD_LU ; 16-byte Folded Reload
	v_fma_f64 v[24:25], v[108:109], v[68:69], v[28:29]
	v_fma_f64 v[26:27], v[108:109], v[70:71], -v[30:31]
	s_delay_alu instid0(VALU_DEP_2) | instskip(NEXT) | instid1(VALU_DEP_2)
	v_mul_f64_e32 v[24:25], s[2:3], v[24:25]
	v_mul_f64_e32 v[26:27], s[2:3], v[26:27]
	s_wait_loadcnt 0x0
	v_mul_f64_e32 v[32:33], v[112:113], v[74:75]
	v_mul_f64_e32 v[34:35], v[112:113], v[72:73]
	scratch_load_b128 v[112:115], off, off offset:152 th:TH_LOAD_LU ; 16-byte Folded Reload
	v_fma_f64 v[28:29], v[110:111], v[72:73], v[32:33]
	v_fma_f64 v[30:31], v[110:111], v[74:75], -v[34:35]
	v_fma_f64 v[32:33], v[116:117], v[76:77], v[36:37]
	v_fma_f64 v[34:35], v[116:117], v[78:79], -v[38:39]
	s_delay_alu instid0(VALU_DEP_4) | instskip(NEXT) | instid1(VALU_DEP_4)
	v_mul_f64_e32 v[28:29], s[2:3], v[28:29]
	v_mul_f64_e32 v[30:31], s[2:3], v[30:31]
	s_delay_alu instid0(VALU_DEP_4) | instskip(NEXT) | instid1(VALU_DEP_4)
	v_mul_f64_e32 v[32:33], s[2:3], v[32:33]
	v_mul_f64_e32 v[34:35], s[2:3], v[34:35]
	s_wait_loadcnt 0x0
	v_mul_f64_e32 v[40:41], v[114:115], v[82:83]
	v_mul_f64_e32 v[42:43], v[114:115], v[80:81]
	s_delay_alu instid0(VALU_DEP_2) | instskip(NEXT) | instid1(VALU_DEP_2)
	v_fma_f64 v[36:37], v[112:113], v[80:81], v[40:41]
	v_fma_f64 v[38:39], v[112:113], v[82:83], -v[42:43]
	v_fma_f64 v[40:41], v[118:119], v[84:85], v[88:89]
	v_fma_f64 v[42:43], v[118:119], v[86:87], -v[90:91]
	s_delay_alu instid0(VALU_DEP_4) | instskip(NEXT) | instid1(VALU_DEP_4)
	v_mul_f64_e32 v[36:37], s[2:3], v[36:37]
	v_mul_f64_e32 v[38:39], s[2:3], v[38:39]
	s_delay_alu instid0(VALU_DEP_4) | instskip(NEXT) | instid1(VALU_DEP_4)
	v_mul_f64_e32 v[40:41], s[2:3], v[40:41]
	v_mul_f64_e32 v[42:43], s[2:3], v[42:43]
	s_clause 0x4
	global_store_b128 v[92:93], v[0:3], off
	global_store_b128 v[94:95], v[4:7], off
	;; [unrolled: 1-line block ×11, first 2 shown]
.LBB0_10:
	s_nop 0
	s_sendmsg sendmsg(MSG_DEALLOC_VGPRS)
	s_endpgm
	.section	.rodata,"a",@progbits
	.p2align	6, 0x0
	.amdhsa_kernel bluestein_single_back_len726_dim1_dp_op_CI_CI
		.amdhsa_group_segment_fixed_size 23232
		.amdhsa_private_segment_fixed_size 276
		.amdhsa_kernarg_size 104
		.amdhsa_user_sgpr_count 2
		.amdhsa_user_sgpr_dispatch_ptr 0
		.amdhsa_user_sgpr_queue_ptr 0
		.amdhsa_user_sgpr_kernarg_segment_ptr 1
		.amdhsa_user_sgpr_dispatch_id 0
		.amdhsa_user_sgpr_private_segment_size 0
		.amdhsa_wavefront_size32 1
		.amdhsa_uses_dynamic_stack 0
		.amdhsa_enable_private_segment 1
		.amdhsa_system_sgpr_workgroup_id_x 1
		.amdhsa_system_sgpr_workgroup_id_y 0
		.amdhsa_system_sgpr_workgroup_id_z 0
		.amdhsa_system_sgpr_workgroup_info 0
		.amdhsa_system_vgpr_workitem_id 0
		.amdhsa_next_free_vgpr 256
		.amdhsa_next_free_sgpr 38
		.amdhsa_reserve_vcc 1
		.amdhsa_float_round_mode_32 0
		.amdhsa_float_round_mode_16_64 0
		.amdhsa_float_denorm_mode_32 3
		.amdhsa_float_denorm_mode_16_64 3
		.amdhsa_fp16_overflow 0
		.amdhsa_workgroup_processor_mode 1
		.amdhsa_memory_ordered 1
		.amdhsa_forward_progress 0
		.amdhsa_round_robin_scheduling 0
		.amdhsa_exception_fp_ieee_invalid_op 0
		.amdhsa_exception_fp_denorm_src 0
		.amdhsa_exception_fp_ieee_div_zero 0
		.amdhsa_exception_fp_ieee_overflow 0
		.amdhsa_exception_fp_ieee_underflow 0
		.amdhsa_exception_fp_ieee_inexact 0
		.amdhsa_exception_int_div_zero 0
	.end_amdhsa_kernel
	.text
.Lfunc_end0:
	.size	bluestein_single_back_len726_dim1_dp_op_CI_CI, .Lfunc_end0-bluestein_single_back_len726_dim1_dp_op_CI_CI
                                        ; -- End function
	.section	.AMDGPU.csdata,"",@progbits
; Kernel info:
; codeLenInByte = 15540
; NumSgprs: 40
; NumVgprs: 256
; ScratchSize: 276
; MemoryBound: 0
; FloatMode: 240
; IeeeMode: 1
; LDSByteSize: 23232 bytes/workgroup (compile time only)
; SGPRBlocks: 4
; VGPRBlocks: 31
; NumSGPRsForWavesPerEU: 40
; NumVGPRsForWavesPerEU: 256
; Occupancy: 5
; WaveLimiterHint : 1
; COMPUTE_PGM_RSRC2:SCRATCH_EN: 1
; COMPUTE_PGM_RSRC2:USER_SGPR: 2
; COMPUTE_PGM_RSRC2:TRAP_HANDLER: 0
; COMPUTE_PGM_RSRC2:TGID_X_EN: 1
; COMPUTE_PGM_RSRC2:TGID_Y_EN: 0
; COMPUTE_PGM_RSRC2:TGID_Z_EN: 0
; COMPUTE_PGM_RSRC2:TIDIG_COMP_CNT: 0
	.text
	.p2alignl 7, 3214868480
	.fill 96, 4, 3214868480
	.type	__hip_cuid_e1c8682894da2e29,@object ; @__hip_cuid_e1c8682894da2e29
	.section	.bss,"aw",@nobits
	.globl	__hip_cuid_e1c8682894da2e29
__hip_cuid_e1c8682894da2e29:
	.byte	0                               ; 0x0
	.size	__hip_cuid_e1c8682894da2e29, 1

	.ident	"AMD clang version 19.0.0git (https://github.com/RadeonOpenCompute/llvm-project roc-6.4.0 25133 c7fe45cf4b819c5991fe208aaa96edf142730f1d)"
	.section	".note.GNU-stack","",@progbits
	.addrsig
	.addrsig_sym __hip_cuid_e1c8682894da2e29
	.amdgpu_metadata
---
amdhsa.kernels:
  - .args:
      - .actual_access:  read_only
        .address_space:  global
        .offset:         0
        .size:           8
        .value_kind:     global_buffer
      - .actual_access:  read_only
        .address_space:  global
        .offset:         8
        .size:           8
        .value_kind:     global_buffer
      - .actual_access:  read_only
        .address_space:  global
        .offset:         16
        .size:           8
        .value_kind:     global_buffer
      - .actual_access:  read_only
        .address_space:  global
        .offset:         24
        .size:           8
        .value_kind:     global_buffer
      - .actual_access:  read_only
        .address_space:  global
        .offset:         32
        .size:           8
        .value_kind:     global_buffer
      - .offset:         40
        .size:           8
        .value_kind:     by_value
      - .address_space:  global
        .offset:         48
        .size:           8
        .value_kind:     global_buffer
      - .address_space:  global
        .offset:         56
        .size:           8
        .value_kind:     global_buffer
      - .address_space:  global
        .offset:         64
        .size:           8
        .value_kind:     global_buffer
      - .address_space:  global
        .offset:         72
        .size:           8
        .value_kind:     global_buffer
      - .offset:         80
        .size:           4
        .value_kind:     by_value
      - .address_space:  global
        .offset:         88
        .size:           8
        .value_kind:     global_buffer
      - .address_space:  global
        .offset:         96
        .size:           8
        .value_kind:     global_buffer
    .group_segment_fixed_size: 23232
    .kernarg_segment_align: 8
    .kernarg_segment_size: 104
    .language:       OpenCL C
    .language_version:
      - 2
      - 0
    .max_flat_workgroup_size: 132
    .name:           bluestein_single_back_len726_dim1_dp_op_CI_CI
    .private_segment_fixed_size: 276
    .sgpr_count:     40
    .sgpr_spill_count: 0
    .symbol:         bluestein_single_back_len726_dim1_dp_op_CI_CI.kd
    .uniform_work_group_size: 1
    .uses_dynamic_stack: false
    .vgpr_count:     256
    .vgpr_spill_count: 72
    .wavefront_size: 32
    .workgroup_processor_mode: 1
amdhsa.target:   amdgcn-amd-amdhsa--gfx1201
amdhsa.version:
  - 1
  - 2
...

	.end_amdgpu_metadata
